;; amdgpu-corpus repo=ROCm/rocFFT kind=compiled arch=gfx1201 opt=O3
	.text
	.amdgcn_target "amdgcn-amd-amdhsa--gfx1201"
	.amdhsa_code_object_version 6
	.protected	fft_rtc_back_len1260_factors_2_2_3_3_5_7_wgs_63_tpt_63_halfLds_half_ip_CI_unitstride_sbrr_R2C_dirReg ; -- Begin function fft_rtc_back_len1260_factors_2_2_3_3_5_7_wgs_63_tpt_63_halfLds_half_ip_CI_unitstride_sbrr_R2C_dirReg
	.globl	fft_rtc_back_len1260_factors_2_2_3_3_5_7_wgs_63_tpt_63_halfLds_half_ip_CI_unitstride_sbrr_R2C_dirReg
	.p2align	8
	.type	fft_rtc_back_len1260_factors_2_2_3_3_5_7_wgs_63_tpt_63_halfLds_half_ip_CI_unitstride_sbrr_R2C_dirReg,@function
fft_rtc_back_len1260_factors_2_2_3_3_5_7_wgs_63_tpt_63_halfLds_half_ip_CI_unitstride_sbrr_R2C_dirReg: ; @fft_rtc_back_len1260_factors_2_2_3_3_5_7_wgs_63_tpt_63_halfLds_half_ip_CI_unitstride_sbrr_R2C_dirReg
; %bb.0:
	s_clause 0x2
	s_load_b128 s[4:7], s[0:1], 0x0
	s_load_b64 s[8:9], s[0:1], 0x50
	s_load_b64 s[10:11], s[0:1], 0x18
	v_mul_u32_u24_e32 v1, 0x411, v0
	v_mov_b32_e32 v3, 0
	v_mov_b32_e32 v4, 0
	s_delay_alu instid0(VALU_DEP_3) | instskip(SKIP_1) | instid1(VALU_DEP_1)
	v_lshrrev_b32_e32 v2, 16, v1
	v_mov_b32_e32 v1, 0
	v_dual_mov_b32 v6, v1 :: v_dual_add_nc_u32 v5, ttmp9, v2
	s_wait_kmcnt 0x0
	v_cmp_lt_u64_e64 s2, s[6:7], 2
	s_delay_alu instid0(VALU_DEP_1)
	s_and_b32 vcc_lo, exec_lo, s2
	s_cbranch_vccnz .LBB0_8
; %bb.1:
	s_load_b64 s[2:3], s[0:1], 0x10
	v_mov_b32_e32 v3, 0
	v_mov_b32_e32 v4, 0
	s_add_nc_u64 s[12:13], s[10:11], 8
	s_mov_b64 s[14:15], 1
	s_wait_kmcnt 0x0
	s_add_nc_u64 s[16:17], s[2:3], 8
	s_mov_b32 s3, 0
.LBB0_2:                                ; =>This Inner Loop Header: Depth=1
	s_load_b64 s[18:19], s[16:17], 0x0
                                        ; implicit-def: $vgpr15_vgpr16
	s_mov_b32 s2, exec_lo
	s_wait_kmcnt 0x0
	v_or_b32_e32 v2, s19, v6
	s_delay_alu instid0(VALU_DEP_1)
	v_cmpx_ne_u64_e32 0, v[1:2]
	s_wait_alu 0xfffe
	s_xor_b32 s20, exec_lo, s2
	s_cbranch_execz .LBB0_4
; %bb.3:                                ;   in Loop: Header=BB0_2 Depth=1
	s_cvt_f32_u32 s2, s18
	s_cvt_f32_u32 s21, s19
	s_sub_nc_u64 s[24:25], 0, s[18:19]
	s_wait_alu 0xfffe
	s_delay_alu instid0(SALU_CYCLE_1) | instskip(SKIP_1) | instid1(SALU_CYCLE_2)
	s_fmamk_f32 s2, s21, 0x4f800000, s2
	s_wait_alu 0xfffe
	v_s_rcp_f32 s2, s2
	s_delay_alu instid0(TRANS32_DEP_1) | instskip(SKIP_1) | instid1(SALU_CYCLE_2)
	s_mul_f32 s2, s2, 0x5f7ffffc
	s_wait_alu 0xfffe
	s_mul_f32 s21, s2, 0x2f800000
	s_wait_alu 0xfffe
	s_delay_alu instid0(SALU_CYCLE_2) | instskip(SKIP_1) | instid1(SALU_CYCLE_2)
	s_trunc_f32 s21, s21
	s_wait_alu 0xfffe
	s_fmamk_f32 s2, s21, 0xcf800000, s2
	s_cvt_u32_f32 s23, s21
	s_wait_alu 0xfffe
	s_delay_alu instid0(SALU_CYCLE_1) | instskip(SKIP_1) | instid1(SALU_CYCLE_2)
	s_cvt_u32_f32 s22, s2
	s_wait_alu 0xfffe
	s_mul_u64 s[26:27], s[24:25], s[22:23]
	s_wait_alu 0xfffe
	s_mul_hi_u32 s29, s22, s27
	s_mul_i32 s28, s22, s27
	s_mul_hi_u32 s2, s22, s26
	s_mul_i32 s30, s23, s26
	s_wait_alu 0xfffe
	s_add_nc_u64 s[28:29], s[2:3], s[28:29]
	s_mul_hi_u32 s21, s23, s26
	s_mul_hi_u32 s31, s23, s27
	s_add_co_u32 s2, s28, s30
	s_wait_alu 0xfffe
	s_add_co_ci_u32 s2, s29, s21
	s_mul_i32 s26, s23, s27
	s_add_co_ci_u32 s27, s31, 0
	s_wait_alu 0xfffe
	s_add_nc_u64 s[26:27], s[2:3], s[26:27]
	s_wait_alu 0xfffe
	v_add_co_u32 v2, s2, s22, s26
	s_delay_alu instid0(VALU_DEP_1) | instskip(SKIP_1) | instid1(VALU_DEP_1)
	s_cmp_lg_u32 s2, 0
	s_add_co_ci_u32 s23, s23, s27
	v_readfirstlane_b32 s22, v2
	s_wait_alu 0xfffe
	s_delay_alu instid0(VALU_DEP_1)
	s_mul_u64 s[24:25], s[24:25], s[22:23]
	s_wait_alu 0xfffe
	s_mul_hi_u32 s27, s22, s25
	s_mul_i32 s26, s22, s25
	s_mul_hi_u32 s2, s22, s24
	s_mul_i32 s28, s23, s24
	s_wait_alu 0xfffe
	s_add_nc_u64 s[26:27], s[2:3], s[26:27]
	s_mul_hi_u32 s21, s23, s24
	s_mul_hi_u32 s22, s23, s25
	s_wait_alu 0xfffe
	s_add_co_u32 s2, s26, s28
	s_add_co_ci_u32 s2, s27, s21
	s_mul_i32 s24, s23, s25
	s_add_co_ci_u32 s25, s22, 0
	s_wait_alu 0xfffe
	s_add_nc_u64 s[24:25], s[2:3], s[24:25]
	s_wait_alu 0xfffe
	v_add_co_u32 v2, s2, v2, s24
	s_delay_alu instid0(VALU_DEP_1) | instskip(SKIP_1) | instid1(VALU_DEP_1)
	s_cmp_lg_u32 s2, 0
	s_add_co_ci_u32 s2, s23, s25
	v_mul_hi_u32 v13, v5, v2
	s_wait_alu 0xfffe
	v_mad_co_u64_u32 v[7:8], null, v5, s2, 0
	v_mad_co_u64_u32 v[9:10], null, v6, v2, 0
	;; [unrolled: 1-line block ×3, first 2 shown]
	s_delay_alu instid0(VALU_DEP_3) | instskip(SKIP_1) | instid1(VALU_DEP_4)
	v_add_co_u32 v2, vcc_lo, v13, v7
	s_wait_alu 0xfffd
	v_add_co_ci_u32_e32 v7, vcc_lo, 0, v8, vcc_lo
	s_delay_alu instid0(VALU_DEP_2) | instskip(SKIP_1) | instid1(VALU_DEP_2)
	v_add_co_u32 v2, vcc_lo, v2, v9
	s_wait_alu 0xfffd
	v_add_co_ci_u32_e32 v2, vcc_lo, v7, v10, vcc_lo
	s_wait_alu 0xfffd
	v_add_co_ci_u32_e32 v7, vcc_lo, 0, v12, vcc_lo
	s_delay_alu instid0(VALU_DEP_2) | instskip(SKIP_1) | instid1(VALU_DEP_2)
	v_add_co_u32 v2, vcc_lo, v2, v11
	s_wait_alu 0xfffd
	v_add_co_ci_u32_e32 v9, vcc_lo, 0, v7, vcc_lo
	s_delay_alu instid0(VALU_DEP_2) | instskip(SKIP_1) | instid1(VALU_DEP_3)
	v_mul_lo_u32 v10, s19, v2
	v_mad_co_u64_u32 v[7:8], null, s18, v2, 0
	v_mul_lo_u32 v11, s18, v9
	s_delay_alu instid0(VALU_DEP_2) | instskip(NEXT) | instid1(VALU_DEP_2)
	v_sub_co_u32 v7, vcc_lo, v5, v7
	v_add3_u32 v8, v8, v11, v10
	s_delay_alu instid0(VALU_DEP_1) | instskip(SKIP_1) | instid1(VALU_DEP_1)
	v_sub_nc_u32_e32 v10, v6, v8
	s_wait_alu 0xfffd
	v_subrev_co_ci_u32_e64 v10, s2, s19, v10, vcc_lo
	v_add_co_u32 v11, s2, v2, 2
	s_wait_alu 0xf1ff
	v_add_co_ci_u32_e64 v12, s2, 0, v9, s2
	v_sub_co_u32 v13, s2, v7, s18
	v_sub_co_ci_u32_e32 v8, vcc_lo, v6, v8, vcc_lo
	s_wait_alu 0xf1ff
	v_subrev_co_ci_u32_e64 v10, s2, 0, v10, s2
	s_delay_alu instid0(VALU_DEP_3) | instskip(NEXT) | instid1(VALU_DEP_3)
	v_cmp_le_u32_e32 vcc_lo, s18, v13
	v_cmp_eq_u32_e64 s2, s19, v8
	s_wait_alu 0xfffd
	v_cndmask_b32_e64 v13, 0, -1, vcc_lo
	v_cmp_le_u32_e32 vcc_lo, s19, v10
	s_wait_alu 0xfffd
	v_cndmask_b32_e64 v14, 0, -1, vcc_lo
	v_cmp_le_u32_e32 vcc_lo, s18, v7
	;; [unrolled: 3-line block ×3, first 2 shown]
	s_wait_alu 0xfffd
	v_cndmask_b32_e64 v15, 0, -1, vcc_lo
	v_cmp_eq_u32_e32 vcc_lo, s19, v10
	s_wait_alu 0xf1ff
	s_delay_alu instid0(VALU_DEP_2)
	v_cndmask_b32_e64 v7, v15, v7, s2
	s_wait_alu 0xfffd
	v_cndmask_b32_e32 v10, v14, v13, vcc_lo
	v_add_co_u32 v13, vcc_lo, v2, 1
	s_wait_alu 0xfffd
	v_add_co_ci_u32_e32 v14, vcc_lo, 0, v9, vcc_lo
	s_delay_alu instid0(VALU_DEP_3) | instskip(SKIP_1) | instid1(VALU_DEP_2)
	v_cmp_ne_u32_e32 vcc_lo, 0, v10
	s_wait_alu 0xfffd
	v_cndmask_b32_e32 v8, v14, v12, vcc_lo
	v_cndmask_b32_e32 v10, v13, v11, vcc_lo
	v_cmp_ne_u32_e32 vcc_lo, 0, v7
	s_wait_alu 0xfffd
	s_delay_alu instid0(VALU_DEP_2)
	v_dual_cndmask_b32 v16, v9, v8 :: v_dual_cndmask_b32 v15, v2, v10
.LBB0_4:                                ;   in Loop: Header=BB0_2 Depth=1
	s_wait_alu 0xfffe
	s_and_not1_saveexec_b32 s2, s20
	s_cbranch_execz .LBB0_6
; %bb.5:                                ;   in Loop: Header=BB0_2 Depth=1
	v_cvt_f32_u32_e32 v2, s18
	s_sub_co_i32 s20, 0, s18
	v_mov_b32_e32 v16, v1
	s_delay_alu instid0(VALU_DEP_2) | instskip(NEXT) | instid1(TRANS32_DEP_1)
	v_rcp_iflag_f32_e32 v2, v2
	v_mul_f32_e32 v2, 0x4f7ffffe, v2
	s_delay_alu instid0(VALU_DEP_1) | instskip(SKIP_1) | instid1(VALU_DEP_1)
	v_cvt_u32_f32_e32 v2, v2
	s_wait_alu 0xfffe
	v_mul_lo_u32 v7, s20, v2
	s_delay_alu instid0(VALU_DEP_1) | instskip(NEXT) | instid1(VALU_DEP_1)
	v_mul_hi_u32 v7, v2, v7
	v_add_nc_u32_e32 v2, v2, v7
	s_delay_alu instid0(VALU_DEP_1) | instskip(NEXT) | instid1(VALU_DEP_1)
	v_mul_hi_u32 v2, v5, v2
	v_mul_lo_u32 v7, v2, s18
	v_add_nc_u32_e32 v8, 1, v2
	s_delay_alu instid0(VALU_DEP_2) | instskip(NEXT) | instid1(VALU_DEP_1)
	v_sub_nc_u32_e32 v7, v5, v7
	v_subrev_nc_u32_e32 v9, s18, v7
	v_cmp_le_u32_e32 vcc_lo, s18, v7
	s_wait_alu 0xfffd
	s_delay_alu instid0(VALU_DEP_2) | instskip(NEXT) | instid1(VALU_DEP_1)
	v_dual_cndmask_b32 v7, v7, v9 :: v_dual_cndmask_b32 v2, v2, v8
	v_cmp_le_u32_e32 vcc_lo, s18, v7
	s_delay_alu instid0(VALU_DEP_2) | instskip(SKIP_1) | instid1(VALU_DEP_1)
	v_add_nc_u32_e32 v8, 1, v2
	s_wait_alu 0xfffd
	v_cndmask_b32_e32 v15, v2, v8, vcc_lo
.LBB0_6:                                ;   in Loop: Header=BB0_2 Depth=1
	s_wait_alu 0xfffe
	s_or_b32 exec_lo, exec_lo, s2
	s_load_b64 s[20:21], s[12:13], 0x0
	v_mul_lo_u32 v2, v16, s18
	v_mul_lo_u32 v9, v15, s19
	v_mad_co_u64_u32 v[7:8], null, v15, s18, 0
	s_add_nc_u64 s[14:15], s[14:15], 1
	s_add_nc_u64 s[12:13], s[12:13], 8
	s_wait_alu 0xfffe
	v_cmp_ge_u64_e64 s2, s[14:15], s[6:7]
	s_add_nc_u64 s[16:17], s[16:17], 8
	s_delay_alu instid0(VALU_DEP_2) | instskip(NEXT) | instid1(VALU_DEP_3)
	v_add3_u32 v2, v8, v9, v2
	v_sub_co_u32 v5, vcc_lo, v5, v7
	s_wait_alu 0xfffd
	s_delay_alu instid0(VALU_DEP_2) | instskip(SKIP_3) | instid1(VALU_DEP_2)
	v_sub_co_ci_u32_e32 v2, vcc_lo, v6, v2, vcc_lo
	s_and_b32 vcc_lo, exec_lo, s2
	s_wait_kmcnt 0x0
	v_mul_lo_u32 v6, s21, v5
	v_mul_lo_u32 v2, s20, v2
	v_mad_co_u64_u32 v[3:4], null, s20, v5, v[3:4]
	s_delay_alu instid0(VALU_DEP_1)
	v_add3_u32 v4, v6, v4, v2
	s_wait_alu 0xfffe
	s_cbranch_vccnz .LBB0_9
; %bb.7:                                ;   in Loop: Header=BB0_2 Depth=1
	v_dual_mov_b32 v5, v15 :: v_dual_mov_b32 v6, v16
	s_branch .LBB0_2
.LBB0_8:
	v_dual_mov_b32 v16, v6 :: v_dual_mov_b32 v15, v5
.LBB0_9:
	s_lshl_b64 s[2:3], s[6:7], 3
	v_mul_hi_u32 v1, 0x4104105, v0
	s_wait_alu 0xfffe
	s_add_nc_u64 s[2:3], s[10:11], s[2:3]
	s_load_b64 s[0:1], s[0:1], 0x20
	s_load_b64 s[2:3], s[2:3], 0x0
	s_delay_alu instid0(VALU_DEP_1) | instskip(NEXT) | instid1(VALU_DEP_1)
	v_mul_u32_u24_e32 v1, 63, v1
	v_sub_nc_u32_e32 v0, v0, v1
	s_delay_alu instid0(VALU_DEP_1)
	v_add_nc_u32_e32 v2, 63, v0
	v_add_nc_u32_e32 v14, 0x7e, v0
	;; [unrolled: 1-line block ×4, first 2 shown]
	s_wait_kmcnt 0x0
	v_cmp_gt_u64_e32 vcc_lo, s[0:1], v[15:16]
	v_mul_lo_u32 v1, s2, v16
	v_mul_lo_u32 v5, s3, v15
	v_mad_co_u64_u32 v[3:4], null, s2, v15, v[3:4]
	v_cmp_le_u64_e64 s0, s[0:1], v[15:16]
	v_add_nc_u32_e32 v11, 0x13b, v0
	v_add_nc_u32_e32 v10, 0x17a, v0
	;; [unrolled: 1-line block ×5, first 2 shown]
	v_add3_u32 v4, v5, v4, v1
	s_and_saveexec_b32 s1, s0
	s_wait_alu 0xfffe
	s_xor_b32 s0, exec_lo, s1
; %bb.10:
	v_add_nc_u32_e32 v2, 63, v0
	v_add_nc_u32_e32 v14, 0x7e, v0
	;; [unrolled: 1-line block ×9, first 2 shown]
; %bb.11:
	s_wait_alu 0xfffe
	s_or_saveexec_b32 s1, s0
	v_lshlrev_b64_e32 v[4:5], 2, v[3:4]
	s_wait_alu 0xfffe
	s_xor_b32 exec_lo, exec_lo, s1
	s_cbranch_execz .LBB0_13
; %bb.12:
	v_mov_b32_e32 v1, 0
	s_delay_alu instid0(VALU_DEP_1) | instskip(SKIP_3) | instid1(VALU_DEP_2)
	v_lshlrev_b64_e32 v[15:16], 2, v[0:1]
	v_add_co_u32 v1, s0, s8, v4
	s_wait_alu 0xf1ff
	v_add_co_ci_u32_e64 v3, s0, s9, v5, s0
	v_add_co_u32 v15, s0, v1, v15
	s_wait_alu 0xf1ff
	s_delay_alu instid0(VALU_DEP_2)
	v_add_co_ci_u32_e64 v16, s0, v3, v16, s0
	s_clause 0x13
	global_load_b32 v1, v[15:16], off
	global_load_b32 v3, v[15:16], off offset:252
	global_load_b32 v8, v[15:16], off offset:504
	;; [unrolled: 1-line block ×19, first 2 shown]
	v_lshl_add_u32 v16, v0, 2, 0
	s_delay_alu instid0(VALU_DEP_1)
	v_add_nc_u32_e32 v34, 0x400, v16
	v_add_nc_u32_e32 v33, 0x200, v16
	;; [unrolled: 1-line block ×8, first 2 shown]
	s_wait_loadcnt 0x12
	ds_store_2addr_b32 v16, v1, v3 offset1:63
	s_wait_loadcnt 0x10
	ds_store_2addr_b32 v16, v8, v17 offset0:126 offset1:189
	s_wait_loadcnt 0xe
	ds_store_2addr_b32 v33, v18, v19 offset0:124 offset1:187
	;; [unrolled: 2-line block ×9, first 2 shown]
.LBB0_13:
	s_or_b32 exec_lo, exec_lo, s1
	v_lshlrev_b32_e32 v1, 2, v0
	global_wb scope:SCOPE_SE
	s_wait_dscnt 0x0
	s_barrier_signal -1
	s_barrier_wait -1
	global_inv scope:SCOPE_SE
	v_add_nc_u32_e32 v35, 0, v1
	v_lshl_add_u32 v30, v2, 3, 0
	v_lshl_add_u32 v33, v14, 3, 0
	;; [unrolled: 1-line block ×4, first 2 shown]
	v_add_nc_u32_e32 v3, 0x600, v35
	v_add_nc_u32_e32 v38, 0x1000, v35
	;; [unrolled: 1-line block ×8, first 2 shown]
	ds_load_2addr_b32 v[15:16], v3 offset0:120 offset1:183
	ds_load_2addr_b32 v[17:18], v38 offset0:110 offset1:173
	;; [unrolled: 1-line block ×8, first 2 shown]
	ds_load_2addr_b32 v[42:43], v35 offset1:63
	ds_load_2addr_b32 v[44:45], v53 offset0:118 offset1:181
	v_add_nc_u32_e32 v3, v35, v1
	v_lshl_add_u32 v39, v11, 3, 0
	v_lshl_add_u32 v54, v10, 3, 0
	;; [unrolled: 1-line block ×5, first 2 shown]
	global_wb scope:SCOPE_SE
	s_wait_dscnt 0x0
	s_barrier_signal -1
	s_barrier_wait -1
	global_inv scope:SCOPE_SE
	v_lshlrev_b32_e32 v55, 1, v9
	v_lshlrev_b32_e32 v58, 1, v6
	;; [unrolled: 1-line block ×4, first 2 shown]
	v_pk_add_f16 v8, v16, v18 neg_lo:[0,1] neg_hi:[0,1]
	v_pk_add_f16 v17, v15, v17 neg_lo:[0,1] neg_hi:[0,1]
	;; [unrolled: 1-line block ×10, first 2 shown]
	v_pk_fma_f16 v28, v28, 2.0, v31 op_sel_hi:[1,0,1] neg_lo:[0,0,1] neg_hi:[0,0,1]
	v_pk_fma_f16 v42, v42, 2.0, v41 op_sel_hi:[1,0,1] neg_lo:[0,0,1] neg_hi:[0,0,1]
	;; [unrolled: 1-line block ×10, first 2 shown]
	ds_store_2addr_b32 v3, v42, v41 offset1:1
	ds_store_2addr_b32 v30, v43, v40 offset1:1
	;; [unrolled: 1-line block ×10, first 2 shown]
	v_and_b32_e32 v16, 1, v6
	v_and_b32_e32 v17, 1, v7
	;; [unrolled: 1-line block ×5, first 2 shown]
	v_lshlrev_b32_e32 v8, 2, v16
	v_and_b32_e32 v20, 1, v2
	v_lshlrev_b32_e32 v21, 2, v17
	v_lshlrev_b32_e32 v22, 2, v18
	;; [unrolled: 1-line block ×4, first 2 shown]
	global_wb scope:SCOPE_SE
	s_wait_dscnt 0x0
	s_barrier_signal -1
	s_barrier_wait -1
	global_inv scope:SCOPE_SE
	global_load_b32 v25, v8, s[4:5]
	v_lshlrev_b32_e32 v8, 2, v20
	s_clause 0x4
	global_load_b32 v26, v21, s[4:5]
	global_load_b32 v28, v22, s[4:5]
	;; [unrolled: 1-line block ×5, first 2 shown]
	v_lshlrev_b32_e32 v21, 1, v0
	v_lshlrev_b32_e32 v22, 1, v2
	v_lshlrev_b32_e32 v23, 1, v14
	v_lshlrev_b32_e32 v24, 1, v13
	v_lshlrev_b32_e32 v42, 1, v12
	v_lshlrev_b32_e32 v43, 1, v11
	v_lshlrev_b32_e32 v44, 1, v10
	v_lshlrev_b32_e32 v45, 1, v7
	v_and_or_b32 v21, 0x7c, v21, v15
	v_and_or_b32 v20, 0xfc, v22, v20
	;; [unrolled: 1-line block ×10, first 2 shown]
	v_lshl_add_u32 v43, v21, 2, 0
	v_lshl_add_u32 v45, v20, 2, 0
	;; [unrolled: 1-line block ×7, first 2 shown]
	ds_load_2addr_b32 v[15:16], v38 offset0:110 offset1:173
	ds_load_2addr_b32 v[17:18], v47 offset0:112 offset1:175
	;; [unrolled: 1-line block ×4, first 2 shown]
	v_lshlrev_b32_e32 v31, 2, v9
	v_lshlrev_b32_e32 v8, 2, v6
	;; [unrolled: 1-line block ×7, first 2 shown]
	v_sub_nc_u32_e32 v67, v27, v31
	v_sub_nc_u32_e32 v68, v36, v8
	;; [unrolled: 1-line block ×9, first 2 shown]
	v_lshl_add_u32 v69, v23, 2, 0
	v_lshl_add_u32 v71, v24, 2, 0
	ds_load_2addr_b32 v[23:24], v53 offset0:118 offset1:181
	ds_load_b32 v52, v67
	ds_load_b32 v67, v68
	;; [unrolled: 1-line block ×10, first 2 shown]
	v_lshl_add_u32 v42, v42, 2, 0
	global_wb scope:SCOPE_SE
	s_wait_loadcnt_dscnt 0x0
	s_barrier_signal -1
	s_barrier_wait -1
	global_inv scope:SCOPE_SE
	v_cmp_gt_u32_e64 s0, 42, v0
	v_pk_mul_f16 v79, v18, v26 op_sel:[0,1]
	v_pk_mul_f16 v80, v20, v28 op_sel:[0,1]
	;; [unrolled: 1-line block ×10, first 2 shown]
	v_pk_fma_f16 v88, v16, v25, v44 op_sel:[0,0,1] op_sel_hi:[1,1,0]
	v_pk_fma_f16 v16, v16, v25, v44 op_sel:[0,0,1] op_sel_hi:[1,0,0] neg_lo:[0,0,1] neg_hi:[0,0,1]
	v_pk_fma_f16 v25, v18, v26, v79 op_sel:[0,0,1] op_sel_hi:[1,1,0]
	v_pk_fma_f16 v18, v18, v26, v79 op_sel:[0,0,1] op_sel_hi:[1,0,0] neg_lo:[0,0,1] neg_hi:[0,0,1]
	;; [unrolled: 2-line block ×10, first 2 shown]
	v_bfi_b32 v23, 0xffff, v41, v23
	v_bfi_b32 v16, 0xffff, v88, v16
	;; [unrolled: 1-line block ×10, first 2 shown]
	v_pk_add_f16 v23, v68, v23 neg_lo:[0,1] neg_hi:[0,1]
	v_pk_add_f16 v44, v67, v16 neg_lo:[0,1] neg_hi:[0,1]
	;; [unrolled: 1-line block ×10, first 2 shown]
	v_pk_fma_f16 v40, v68, 2.0, v23 op_sel_hi:[1,0,1] neg_lo:[0,0,1] neg_hi:[0,0,1]
	v_pk_fma_f16 v41, v74, 2.0, v22 op_sel_hi:[1,0,1] neg_lo:[0,0,1] neg_hi:[0,0,1]
	;; [unrolled: 1-line block ×10, first 2 shown]
	ds_store_2addr_b32 v43, v40, v23 offset1:2
	ds_store_2addr_b32 v45, v41, v22 offset1:2
	;; [unrolled: 1-line block ×10, first 2 shown]
	global_wb scope:SCOPE_SE
	s_wait_dscnt 0x0
	s_barrier_signal -1
	s_barrier_wait -1
	global_inv scope:SCOPE_SE
	ds_load_2addr_b32 v[23:24], v46 offset0:164 offset1:227
	ds_load_2addr_b32 v[25:26], v51 offset0:72 offset1:135
	;; [unrolled: 1-line block ×6, first 2 shown]
	ds_load_b32 v47, v35
	ds_load_b32 v45, v60
	;; [unrolled: 1-line block ×6, first 2 shown]
	v_sub_nc_u32_e32 v38, 0, v59
	v_lshrrev_b32_e32 v29, 16, v28
	v_lshrrev_b32_e32 v46, 16, v44
                                        ; implicit-def: $vgpr53
                                        ; implicit-def: $vgpr52
	s_delay_alu instid0(VALU_DEP_3)
	v_add_nc_u32_e32 v38, v54, v38
	s_and_saveexec_b32 s1, s0
	s_cbranch_execz .LBB0_15
; %bb.14:
	ds_load_b32 v28, v38
	ds_load_b32 v44, v35 offset:3192
	ds_load_b32 v52, v35 offset:4872
	s_wait_dscnt 0x2
	v_lshrrev_b32_e32 v29, 16, v28
	s_wait_dscnt 0x1
	v_lshrrev_b32_e32 v46, 16, v44
	;; [unrolled: 2-line block ×3, first 2 shown]
.LBB0_15:
	s_wait_alu 0xfffe
	s_or_b32 exec_lo, exec_lo, s1
	v_and_b32_e32 v70, 3, v0
	v_and_b32_e32 v71, 3, v2
	;; [unrolled: 1-line block ×5, first 2 shown]
	v_lshlrev_b32_e32 v51, 3, v70
	v_lshlrev_b32_e32 v54, 3, v71
	;; [unrolled: 1-line block ×3, first 2 shown]
	v_and_b32_e32 v55, 3, v10
	v_lshrrev_b32_e32 v92, 2, v2
	s_clause 0x2
	global_load_b64 v[58:59], v51, s[4:5] offset:8
	global_load_b64 v[60:61], v54, s[4:5] offset:8
	;; [unrolled: 1-line block ×3, first 2 shown]
	v_lshlrev_b32_e32 v51, 3, v73
	v_lshlrev_b32_e32 v54, 3, v74
	;; [unrolled: 1-line block ×3, first 2 shown]
	s_clause 0x2
	global_load_b64 v[64:65], v51, s[4:5] offset:8
	global_load_b64 v[66:67], v54, s[4:5] offset:8
	;; [unrolled: 1-line block ×3, first 2 shown]
	v_lshrrev_b32_e32 v93, 2, v14
	v_lshrrev_b32_e32 v96, 2, v11
	;; [unrolled: 1-line block ×5, first 2 shown]
	v_mul_lo_u32 v92, v92, 12
	v_mul_lo_u32 v93, v93, 12
	;; [unrolled: 1-line block ×5, first 2 shown]
	v_mul_u32_u24_e32 v91, 12, v91
	s_wait_dscnt 0xb
	v_lshrrev_b32_e32 v84, 16, v23
	s_wait_dscnt 0xa
	v_lshrrev_b32_e32 v85, 16, v25
	;; [unrolled: 2-line block ×4, first 2 shown]
	v_or_b32_e32 v71, v92, v71
	v_or_b32_e32 v72, v93, v72
	;; [unrolled: 1-line block ×3, first 2 shown]
	v_lshrrev_b32_e32 v86, 16, v24
	v_lshrrev_b32_e32 v87, 16, v26
	v_or_b32_e32 v91, v91, v70
	v_or_b32_e32 v73, v94, v73
	v_or_b32_e32 v70, v95, v70
	v_lshrrev_b32_e32 v77, 16, v20
	s_wait_dscnt 0x7
	v_lshrrev_b32_e32 v79, 16, v17
	s_wait_dscnt 0x6
	v_lshrrev_b32_e32 v80, 16, v15
	v_lshrrev_b32_e32 v82, 16, v18
	;; [unrolled: 1-line block ×4, first 2 shown]
	v_sub_nc_u32_e32 v54, 0, v49
	v_sub_nc_u32_e32 v49, 0, v50
	;; [unrolled: 1-line block ×3, first 2 shown]
	s_wait_dscnt 0x5
	v_lshrrev_b32_e32 v56, 16, v47
	s_wait_dscnt 0x3
	v_lshrrev_b32_e32 v75, 16, v43
	v_sub_nc_u32_e32 v51, 0, v48
	v_sub_nc_u32_e32 v48, 0, v57
	v_lshrrev_b32_e32 v57, 16, v45
	s_wait_dscnt 0x2
	v_lshrrev_b32_e32 v76, 16, v42
	s_wait_dscnt 0x1
	;; [unrolled: 2-line block ×3, first 2 shown]
	v_lshrrev_b32_e32 v81, 16, v40
	v_lshl_add_u32 v91, v91, 2, 0
	v_lshl_add_u32 v71, v71, 2, 0
	;; [unrolled: 1-line block ×3, first 2 shown]
	global_wb scope:SCOPE_SE
	s_wait_loadcnt 0x0
	s_barrier_signal -1
	s_barrier_wait -1
	global_inv scope:SCOPE_SE
	v_lshl_add_u32 v73, v73, 2, 0
	v_lshl_add_u32 v70, v70, 2, 0
	;; [unrolled: 1-line block ×3, first 2 shown]
	v_lshrrev_b32_e32 v92, 16, v58
	v_lshrrev_b32_e32 v93, 16, v59
	;; [unrolled: 1-line block ×12, first 2 shown]
	v_mul_f16_e32 v106, v92, v84
	v_mul_f16_e32 v107, v93, v85
	;; [unrolled: 1-line block ×28, first 2 shown]
	v_fmac_f16_e32 v106, v58, v23
	v_fmac_f16_e32 v107, v59, v25
	;; [unrolled: 1-line block ×4, first 2 shown]
	v_fma_f16 v19, v58, v84, -v108
	v_fma_f16 v21, v59, v85, -v110
	;; [unrolled: 1-line block ×4, first 2 shown]
	v_fmac_f16_e32 v94, v60, v24
	v_fmac_f16_e32 v95, v61, v26
	v_fma_f16 v23, v62, v88, -v109
	v_fma_f16 v24, v63, v89, -v111
	v_fmac_f16_e32 v112, v64, v22
	v_fma_f16 v22, v64, v90, -v98
	v_fmac_f16_e32 v113, v20, v65
	;; [unrolled: 2-line block ×8, first 2 shown]
	v_fma_f16 v26, v53, v69, -v103
	v_add_f16_e32 v46, v106, v107
	v_sub_f16_e32 v52, v19, v21
	v_add_f16_e32 v53, v56, v19
	v_add_f16_e32 v19, v19, v21
	;; [unrolled: 1-line block ×5, first 2 shown]
	v_sub_f16_e32 v67, v23, v24
	v_add_f16_e32 v68, v75, v23
	v_add_f16_e32 v23, v23, v24
	;; [unrolled: 1-line block ×3, first 2 shown]
	v_sub_f16_e32 v58, v106, v107
	v_add_f16_e32 v59, v45, v94
	v_sub_f16_e32 v61, v86, v87
	v_add_f16_e32 v62, v57, v86
	;; [unrolled: 2-line block ×4, first 2 shown]
	v_add_f16_e32 v22, v22, v20
	v_add_f16_e32 v85, v114, v115
	v_sub_f16_e32 v86, v17, v15
	v_add_f16_e32 v88, v78, v17
	v_add_f16_e32 v17, v17, v15
	;; [unrolled: 1-line block ×4, first 2 shown]
	v_sub_f16_e32 v93, v18, v16
	v_add_f16_e32 v94, v81, v18
	v_add_f16_e32 v18, v18, v16
	;; [unrolled: 1-line block ×3, first 2 shown]
	v_sub_f16_e32 v100, v25, v26
	v_add_f16_e32 v101, v29, v25
	v_add_f16_e32 v25, v25, v26
	v_fmac_f16_e32 v47, -0.5, v46
	v_fmac_f16_e32 v56, -0.5, v19
	v_add_f16_e32 v84, v41, v114
	v_fmac_f16_e32 v45, -0.5, v60
	v_fmac_f16_e32 v57, -0.5, v63
	v_add_f16_e32 v77, v42, v112
	v_add_f16_e32 v65, v43, v96
	v_sub_f16_e32 v69, v96, v97
	v_fmac_f16_e32 v43, -0.5, v66
	v_fmac_f16_e32 v75, -0.5, v23
	v_sub_f16_e32 v83, v112, v113
	v_sub_f16_e32 v89, v114, v115
	;; [unrolled: 1-line block ×3, first 2 shown]
	v_add_f16_e32 v98, v28, v118
	v_sub_f16_e32 v102, v118, v119
	v_add_f16_e32 v103, v44, v107
	v_add_f16_e32 v21, v53, v21
	v_fmac_f16_e32 v42, -0.5, v79
	v_fmac_f16_e32 v76, -0.5, v22
	;; [unrolled: 1-line block ×4, first 2 shown]
	v_add_f16_e32 v17, v90, v117
	v_fmac_f16_e32 v40, -0.5, v92
	v_add_f16_e32 v16, v94, v16
	v_fmac_f16_e32 v81, -0.5, v18
	v_fmac_f16_e32 v28, -0.5, v99
	;; [unrolled: 1-line block ×3, first 2 shown]
	v_fmamk_f16 v18, v52, 0xbaee, v47
	v_fmamk_f16 v25, v58, 0x3aee, v56
	v_fmac_f16_e32 v47, 0x3aee, v52
	v_fmac_f16_e32 v56, 0xbaee, v58
	v_add_f16_e32 v19, v59, v95
	v_add_f16_e32 v59, v62, v87
	;; [unrolled: 1-line block ×5, first 2 shown]
	v_fmamk_f16 v26, v61, 0xbaee, v45
	v_fmamk_f16 v58, v64, 0x3aee, v57
	v_add_f16_e32 v23, v77, v113
	v_add_f16_e32 v20, v82, v20
	v_fmac_f16_e32 v45, 0x3aee, v61
	v_fmac_f16_e32 v57, 0xbaee, v64
	v_add_f16_e32 v60, v65, v97
	v_add_f16_e32 v24, v68, v24
	v_fmamk_f16 v61, v67, 0xbaee, v43
	v_fmamk_f16 v62, v69, 0x3aee, v75
	v_add_f16_e32 v44, v98, v119
	v_fmac_f16_e32 v43, 0x3aee, v67
	v_fmac_f16_e32 v75, 0xbaee, v69
	v_fmamk_f16 v63, v80, 0xbaee, v42
	v_fmac_f16_e32 v42, 0x3aee, v80
	v_fmamk_f16 v64, v83, 0x3aee, v76
	;; [unrolled: 2-line block ×8, first 2 shown]
	v_fmac_f16_e32 v29, 0xbaee, v102
	v_pack_b32_f16 v21, v103, v21
	v_pack_b32_f16 v16, v17, v16
	;; [unrolled: 1-line block ×18, first 2 shown]
	ds_store_2addr_b32 v91, v21, v17 offset1:4
	ds_store_b32 v91, v18 offset:32
	ds_store_2addr_b32 v71, v19, v22 offset1:4
	ds_store_b32 v71, v23 offset:32
	;; [unrolled: 2-line block ×6, first 2 shown]
	s_and_saveexec_b32 s1, s0
	s_cbranch_execz .LBB0_17
; %bb.16:
	v_lshrrev_b32_e32 v15, 2, v10
	v_perm_b32 v16, v46, v44, 0x5040100
	v_perm_b32 v17, v53, v52, 0x5040100
	;; [unrolled: 1-line block ×3, first 2 shown]
	s_delay_alu instid0(VALU_DEP_4) | instskip(NEXT) | instid1(VALU_DEP_1)
	v_mul_lo_u32 v15, v15, 12
	v_or_b32_e32 v15, v15, v55
	s_delay_alu instid0(VALU_DEP_1)
	v_lshl_add_u32 v15, v15, 2, 0
	ds_store_2addr_b32 v15, v16, v17 offset1:4
	ds_store_b32 v15, v18 offset:32
.LBB0_17:
	s_wait_alu 0xfffe
	s_or_b32 exec_lo, exec_lo, s1
	v_add_nc_u32_e32 v15, 0x400, v35
	v_add_nc_u32_e32 v17, 0xc00, v35
	;; [unrolled: 1-line block ×9, first 2 shown]
	global_wb scope:SCOPE_SE
	s_wait_dscnt 0x0
	s_barrier_signal -1
	s_barrier_wait -1
	global_inv scope:SCOPE_SE
	ds_load_2addr_b32 v[15:16], v15 offset0:164 offset1:227
	ds_load_2addr_b32 v[19:20], v17 offset0:72 offset1:135
	;; [unrolled: 1-line block ×6, first 2 shown]
	v_add_nc_u32_e32 v39, v39, v48
	ds_load_b32 v51, v35
	ds_load_b32 v50, v43
	;; [unrolled: 1-line block ×6, first 2 shown]
	s_and_saveexec_b32 s1, s0
	s_cbranch_execz .LBB0_19
; %bb.18:
	ds_load_b32 v44, v38
	ds_load_b32 v52, v35 offset:3192
	ds_load_b32 v28, v35 offset:4872
	s_wait_dscnt 0x2
	v_lshrrev_b32_e32 v46, 16, v44
	s_wait_dscnt 0x1
	v_lshrrev_b32_e32 v53, 16, v52
	s_wait_dscnt 0x0
	v_lshrrev_b32_e32 v29, 16, v28
.LBB0_19:
	s_wait_alu 0xfffe
	s_or_b32 exec_lo, exec_lo, s1
	v_and_b32_e32 v45, 0xff, v0
	v_and_b32_e32 v33, 0xff, v2
	;; [unrolled: 1-line block ×5, first 2 shown]
	v_mul_lo_u16 v45, 0xab, v45
	v_mul_lo_u16 v54, 0xab, v33
	v_and_b32_e32 v56, 0xffff, v11
	v_mul_lo_u16 v58, 0xab, v30
	v_and_b32_e32 v57, 0xffff, v10
	v_lshrrev_b16 v45, 11, v45
	v_lshrrev_b16 v72, 11, v54
	v_mul_lo_u16 v54, 0xab, v32
	v_mul_u32_u24_e32 v55, 0xaaab, v55
	v_lshrrev_b16 v74, 11, v58
	v_mul_lo_u16 v59, v45, 12
	v_mul_u32_u24_e32 v56, 0xaaab, v56
	v_lshrrev_b16 v73, 11, v54
	v_mul_u32_u24_e32 v57, 0xaaab, v57
	v_lshrrev_b32_e32 v75, 19, v55
	v_sub_nc_u16 v54, v0, v59
	v_mul_lo_u16 v58, v74, 12
	v_mul_lo_u16 v55, v73, 12
	v_lshrrev_b32_e32 v56, 19, v56
	v_mul_lo_u16 v60, v72, 12
	v_and_b32_e32 v76, 0xff, v54
	v_lshrrev_b32_e32 v54, 19, v57
	v_sub_nc_u16 v55, v14, v55
	v_sub_nc_u16 v57, v13, v58
	v_mul_lo_u16 v58, v75, 12
	v_mul_lo_u16 v61, v56, 12
	v_sub_nc_u16 v59, v2, v60
	v_and_b32_e32 v78, 0xff, v55
	v_mul_lo_u16 v55, v54, 12
	v_sub_nc_u16 v58, v12, v58
	v_sub_nc_u16 v61, v11, v61
	v_and_b32_e32 v77, 0xff, v59
	v_lshlrev_b32_e32 v59, 3, v76
	v_sub_nc_u16 v55, v10, v55
	v_and_b32_e32 v57, 0xff, v57
	v_and_b32_e32 v79, 0xffff, v58
	;; [unrolled: 1-line block ×3, first 2 shown]
	v_lshlrev_b32_e32 v60, 3, v77
	v_and_b32_e32 v55, 0xffff, v55
	v_lshlrev_b32_e32 v62, 3, v78
	v_lshlrev_b32_e32 v64, 3, v57
	s_clause 0x1
	global_load_b64 v[58:59], v59, s[4:5] offset:40
	global_load_b64 v[60:61], v60, s[4:5] offset:40
	v_lshlrev_b32_e32 v66, 3, v79
	s_clause 0x1
	global_load_b64 v[62:63], v62, s[4:5] offset:40
	global_load_b64 v[64:65], v64, s[4:5] offset:40
	v_lshlrev_b32_e32 v68, 3, v80
	v_lshlrev_b32_e32 v70, 3, v55
	s_clause 0x2
	global_load_b64 v[66:67], v66, s[4:5] offset:40
	global_load_b64 v[68:69], v68, s[4:5] offset:40
	;; [unrolled: 1-line block ×3, first 2 shown]
	v_and_b32_e32 v45, 0xffff, v45
	v_and_b32_e32 v72, 0xffff, v72
	;; [unrolled: 1-line block ×4, first 2 shown]
	v_mul_u32_u24_e32 v56, 0x90, v56
	v_mul_u32_u24_e32 v45, 0x90, v45
	;; [unrolled: 1-line block ×3, first 2 shown]
	v_lshlrev_b32_e32 v76, 2, v76
	v_lshlrev_b32_e32 v77, 2, v77
	;; [unrolled: 1-line block ×3, first 2 shown]
	v_mul_u32_u24_e32 v73, 0x90, v73
	v_mul_u32_u24_e32 v74, 0x90, v74
	v_lshlrev_b32_e32 v78, 2, v78
	v_lshlrev_b32_e32 v57, 2, v57
	v_mul_u32_u24_e32 v75, 0x90, v75
	v_lshlrev_b32_e32 v79, 2, v79
	s_wait_dscnt 0xb
	v_lshrrev_b32_e32 v92, 16, v15
	s_wait_dscnt 0xa
	v_lshrrev_b32_e32 v93, 16, v19
	v_add3_u32 v76, 0, v45, v76
	v_add3_u32 v72, 0, v72, v77
	;; [unrolled: 1-line block ×3, first 2 shown]
	v_lshrrev_b32_e32 v94, 16, v16
	v_lshrrev_b32_e32 v95, 16, v20
	v_add3_u32 v73, 0, v73, v78
	v_add3_u32 v74, 0, v74, v57
	s_wait_dscnt 0x9
	v_lshrrev_b32_e32 v96, 16, v17
	s_wait_dscnt 0x8
	v_lshrrev_b32_e32 v97, 16, v25
	v_add3_u32 v75, 0, v75, v79
	v_lshrrev_b32_e32 v85, 16, v26
	s_wait_dscnt 0x7
	v_lshrrev_b32_e32 v87, 16, v23
	s_wait_dscnt 0x6
	v_lshrrev_b32_e32 v88, 16, v21
	v_lshrrev_b32_e32 v90, 16, v24
	;; [unrolled: 1-line block ×4, first 2 shown]
	s_wait_dscnt 0x5
	v_lshrrev_b32_e32 v81, 16, v51
	s_wait_dscnt 0x4
	v_lshrrev_b32_e32 v82, 16, v50
	;; [unrolled: 2-line block ×4, first 2 shown]
	v_lshrrev_b32_e32 v83, 16, v49
	v_lshrrev_b32_e32 v84, 16, v48
	v_sub_nc_u32_e32 v31, 0, v31
	global_wb scope:SCOPE_SE
	s_wait_loadcnt 0x0
	s_barrier_signal -1
	s_barrier_wait -1
	global_inv scope:SCOPE_SE
	v_lshrrev_b32_e32 v45, 16, v58
	v_lshrrev_b32_e32 v56, 16, v59
	;; [unrolled: 1-line block ×14, first 2 shown]
	v_mul_f16_e32 v107, v45, v92
	v_mul_f16_e32 v45, v45, v15
	;; [unrolled: 1-line block ×28, first 2 shown]
	v_fmac_f16_e32 v107, v58, v15
	v_fma_f16 v45, v58, v92, -v45
	v_fmac_f16_e32 v108, v59, v19
	v_fma_f16 v58, v59, v93, -v109
	;; [unrolled: 2-line block ×14, first 2 shown]
	v_add_f16_e32 v29, v107, v108
	v_sub_f16_e32 v52, v45, v58
	v_add_f16_e32 v53, v81, v45
	v_add_f16_e32 v45, v45, v58
	v_add_f16_e32 v61, v110, v112
	v_sub_f16_e32 v62, v16, v20
	v_add_f16_e32 v63, v82, v16
	v_add_f16_e32 v16, v16, v20
	v_add_f16_e32 v66, v113, v114
	v_add_f16_e32 v69, v19, v25
	v_add_f16_e32 v28, v51, v107
	v_sub_f16_e32 v59, v107, v108
	v_add_f16_e32 v60, v50, v110
	v_add_f16_e32 v65, v49, v113
	;; [unrolled: 6-line block ×3, first 2 shown]
	v_add_f16_e32 v94, v34, v119
	v_add_f16_e32 v95, v119, v120
	v_sub_f16_e32 v96, v24, v22
	v_add_f16_e32 v97, v89, v24
	v_add_f16_e32 v24, v24, v22
	v_add_f16_e32 v99, v57, v56
	v_add_f16_e32 v100, v17, v15
	v_fmac_f16_e32 v51, -0.5, v29
	v_fmac_f16_e32 v81, -0.5, v45
	v_sub_f16_e32 v64, v110, v112
	v_fmac_f16_e32 v50, -0.5, v61
	v_fmac_f16_e32 v82, -0.5, v16
	v_sub_f16_e32 v67, v19, v25
	v_add_f16_e32 v68, v83, v19
	v_sub_f16_e32 v70, v113, v114
	v_fmac_f16_e32 v49, -0.5, v66
	v_fmac_f16_e32 v83, -0.5, v69
	v_add_f16_e32 v71, v48, v115
	v_sub_f16_e32 v79, v18, v26
	v_add_f16_e32 v80, v84, v18
	v_sub_f16_e32 v87, v115, v116
	;; [unrolled: 2-line block ×3, first 2 shown]
	v_sub_f16_e32 v98, v119, v120
	v_sub_f16_e32 v18, v17, v15
	;; [unrolled: 1-line block ×3, first 2 shown]
	v_add_f16_e32 v28, v28, v108
	v_add_f16_e32 v29, v53, v58
	;; [unrolled: 1-line block ×5, first 2 shown]
	v_fmac_f16_e32 v48, -0.5, v78
	v_fmac_f16_e32 v84, -0.5, v85
	v_fmac_f16_e32 v47, -0.5, v90
	v_add_f16_e32 v65, v92, v21
	v_fmac_f16_e32 v86, -0.5, v23
	v_add_f16_e32 v23, v94, v120
	v_fmac_f16_e32 v34, -0.5, v95
	;; [unrolled: 2-line block ×3, first 2 shown]
	v_fma_f16 v20, -0.5, v99, v44
	v_fma_f16 v21, -0.5, v100, v46
	v_fmamk_f16 v24, v52, 0xbaee, v51
	v_fmac_f16_e32 v51, 0x3aee, v52
	v_fmamk_f16 v52, v59, 0x3aee, v81
	v_fmac_f16_e32 v81, 0xbaee, v59
	;; [unrolled: 2-line block ×4, first 2 shown]
	v_add_f16_e32 v25, v68, v25
	v_fmamk_f16 v64, v67, 0xbaee, v49
	v_fmamk_f16 v66, v70, 0x3aee, v83
	v_add_f16_e32 v61, v71, v116
	v_add_f16_e32 v26, v80, v26
	;; [unrolled: 1-line block ×3, first 2 shown]
	v_fmac_f16_e32 v49, 0x3aee, v67
	v_fmac_f16_e32 v83, 0xbaee, v70
	v_fmamk_f16 v67, v79, 0xbaee, v48
	v_fmac_f16_e32 v48, 0x3aee, v79
	v_fmamk_f16 v68, v87, 0x3aee, v84
	;; [unrolled: 2-line block ×7, first 2 shown]
	v_fmamk_f16 v45, v19, 0xbaee, v21
	v_pack_b32_f16 v28, v28, v29
	v_pack_b32_f16 v22, v23, v22
	v_pack_b32_f16 v23, v24, v52
	v_pack_b32_f16 v24, v51, v81
	v_pack_b32_f16 v29, v53, v58
	v_pack_b32_f16 v51, v59, v62
	v_pack_b32_f16 v50, v50, v82
	v_pack_b32_f16 v25, v60, v25
	v_pack_b32_f16 v52, v64, v66
	v_pack_b32_f16 v26, v61, v26
	v_pack_b32_f16 v53, v63, v65
	v_pack_b32_f16 v49, v49, v83
	v_pack_b32_f16 v58, v67, v68
	v_pack_b32_f16 v48, v48, v84
	v_pack_b32_f16 v59, v69, v70
	v_pack_b32_f16 v47, v47, v86
	v_pack_b32_f16 v60, v71, v78
	v_pack_b32_f16 v34, v34, v89
	ds_store_2addr_b32 v76, v28, v23 offset1:12
	ds_store_b32 v76, v24 offset:96
	ds_store_2addr_b32 v72, v29, v51 offset1:12
	ds_store_b32 v72, v50 offset:96
	;; [unrolled: 2-line block ×6, first 2 shown]
	s_and_saveexec_b32 s1, s0
	s_cbranch_execz .LBB0_21
; %bb.20:
	v_mul_f16_e32 v19, 0x3aee, v19
	v_mul_lo_u16 v22, v54, 36
	v_mul_f16_e32 v18, 0x3aee, v18
	v_add_f16_e32 v17, v46, v17
	v_add_f16_e32 v23, v44, v57
	;; [unrolled: 1-line block ×3, first 2 shown]
	v_and_b32_e32 v21, 0xffff, v22
	v_sub_f16_e32 v18, v20, v18
	v_add_f16_e32 v15, v17, v15
	v_add_f16_e32 v17, v23, v56
	v_lshlrev_b32_e32 v20, 2, v55
	v_lshlrev_b32_e32 v21, 2, v21
	s_delay_alu instid0(VALU_DEP_3) | instskip(SKIP_1) | instid1(VALU_DEP_3)
	v_pack_b32_f16 v15, v17, v15
	v_pack_b32_f16 v17, v18, v19
	v_add3_u32 v18, 0, v20, v21
	v_perm_b32 v19, v45, v16, 0x5040100
	ds_store_2addr_b32 v18, v15, v17 offset1:12
	ds_store_b32 v18, v19 offset:96
.LBB0_21:
	s_wait_alu 0xfffe
	s_or_b32 exec_lo, exec_lo, s1
	v_mul_lo_u16 v15, v33, 57
	v_subrev_nc_u32_e32 v17, 36, v0
	v_cmp_gt_u32_e64 s0, 36, v0
	v_mul_lo_u16 v18, v32, 57
	global_wb scope:SCOPE_SE
	s_wait_dscnt 0x0
	v_lshrrev_b16 v23, 11, v15
	s_barrier_signal -1
	s_wait_alu 0xf1ff
	v_cndmask_b32_e64 v15, v17, v0, s0
	v_mul_lo_u16 v17, v30, 57
	v_lshrrev_b16 v28, 11, v18
	v_mul_lo_u16 v18, v23, 36
	s_delay_alu instid0(VALU_DEP_4) | instskip(NEXT) | instid1(VALU_DEP_4)
	v_dual_mov_b32 v20, 0 :: v_dual_lshlrev_b32 v19, 2, v15
	v_lshrrev_b16 v24, 11, v17
	s_delay_alu instid0(VALU_DEP_4) | instskip(NEXT) | instid1(VALU_DEP_4)
	v_mul_lo_u16 v15, v28, 36
	v_sub_nc_u16 v21, v2, v18
	s_barrier_wait -1
	v_lshlrev_b64_e32 v[17:18], 2, v[19:20]
	v_mul_lo_u16 v22, v24, 36
	v_sub_nc_u16 v15, v14, v15
	v_and_b32_e32 v34, 0xff, v21
	global_inv scope:SCOPE_SE
	v_add_nc_u32_e32 v44, v27, v31
	v_add_co_u32 v17, s0, s4, v17
	s_wait_alu 0xf1ff
	v_add_co_ci_u32_e64 v18, s0, s5, v18, s0
	v_sub_nc_u16 v21, v13, v22
	v_lshlrev_b32_e32 v22, 4, v34
	v_and_b32_e32 v15, 0xff, v15
	global_load_b128 v[47:50], v[17:18], off offset:136
	v_add_nc_u32_e32 v54, 0x400, v35
	v_add_nc_u32_e32 v26, 0x600, v35
	global_load_b128 v[57:60], v22, s[4:5] offset:136
	v_and_b32_e32 v17, 0xff, v21
	v_lshlrev_b32_e32 v18, 4, v15
	v_add_nc_u32_e32 v53, 0xa00, v35
	v_add_nc_u32_e32 v25, 0xe00, v35
	;; [unrolled: 1-line block ×3, first 2 shown]
	v_lshlrev_b32_e32 v21, 4, v17
	s_clause 0x1
	global_load_b128 v[61:64], v18, s[4:5] offset:136
	global_load_b128 v[65:68], v21, s[4:5] offset:136
	ds_load_b32 v31, v35
	ds_load_b32 v30, v43
	;; [unrolled: 1-line block ×3, first 2 shown]
	v_add_nc_u32_e32 v56, 0xc00, v35
	v_add_nc_u32_e32 v55, 0x1000, v35
	ds_load_b32 v77, v44
	ds_load_b32 v78, v40
	;; [unrolled: 1-line block ×3, first 2 shown]
	ds_load_2addr_b32 v[21:22], v54 offset0:59 offset1:122
	ds_load_2addr_b32 v[32:33], v26 offset0:57 offset1:183
	;; [unrolled: 1-line block ×7, first 2 shown]
	v_lshlrev_b32_e32 v99, 2, v15
	v_lshlrev_b32_e32 v100, 2, v17
	v_cmp_lt_u32_e64 s0, 35, v0
	v_and_b32_e32 v23, 0xffff, v23
	v_lshlrev_b32_e32 v34, 2, v34
	v_and_b32_e32 v28, 0xffff, v28
	global_wb scope:SCOPE_SE
	s_wait_loadcnt_dscnt 0x0
	s_wait_alu 0xf1ff
	v_cndmask_b32_e64 v79, 0, 0x2d0, s0
	v_mul_u32_u24_e32 v23, 0x2d0, v23
	s_barrier_signal -1
	v_lshrrev_b32_e32 v96, 16, v77
	v_lshrrev_b32_e32 v83, 16, v78
	v_lshrrev_b32_e32 v46, 16, v18
	v_lshrrev_b32_e32 v84, 16, v21
	v_lshrrev_b32_e32 v85, 16, v33
	v_lshrrev_b32_e32 v97, 16, v51
	v_lshrrev_b32_e32 v98, 16, v69
	v_lshrrev_b32_e32 v86, 16, v52
	v_lshrrev_b32_e32 v87, 16, v70
	v_lshrrev_b32_e32 v88, 16, v22
	v_lshrrev_b32_e32 v89, 16, v71
	v_lshrrev_b32_e32 v90, 16, v73
	v_lshrrev_b32_e32 v91, 16, v75
	v_lshrrev_b32_e32 v92, 16, v32
	v_lshrrev_b32_e32 v93, 16, v72
	v_lshrrev_b32_e32 v94, 16, v74
	v_lshrrev_b32_e32 v95, 16, v76
	v_lshrrev_b32_e32 v80, 16, v31
	v_lshrrev_b32_e32 v81, 16, v30
	v_lshrrev_b32_e32 v82, 16, v29
	v_add3_u32 v19, 0, v79, v19
	s_barrier_wait -1
	global_inv scope:SCOPE_SE
	v_and_b32_e32 v24, 0xffff, v24
	v_mul_u32_u24_e32 v28, 0x2d0, v28
	v_cmp_gt_u32_e64 s0, 54, v0
	s_delay_alu instid0(VALU_DEP_2)
	v_add3_u32 v28, 0, v28, v99
	v_lshrrev_b32_e32 v15, 16, v47
	v_lshrrev_b32_e32 v17, 16, v48
	;; [unrolled: 1-line block ×8, first 2 shown]
	v_mul_f16_e32 v115, v15, v83
	v_mul_f16_e32 v15, v15, v78
	;; [unrolled: 1-line block ×4, first 2 shown]
	v_lshrrev_b32_e32 v107, 16, v61
	v_lshrrev_b32_e32 v108, 16, v62
	;; [unrolled: 1-line block ×8, first 2 shown]
	v_mul_f16_e32 v117, v101, v97
	v_mul_f16_e32 v101, v101, v51
	;; [unrolled: 1-line block ×19, first 2 shown]
	v_mul_f16_e64 v128, v93, v112
	v_mul_f16_e32 v112, v72, v112
	v_mul_f16_e64 v129, v94, v113
	v_mul_f16_e32 v113, v74, v113
	;; [unrolled: 2-line block ×3, first 2 shown]
	v_fmac_f16_e32 v115, v47, v78
	v_fma_f16 v15, v47, v83, -v15
	v_fmac_f16_e32 v116, v48, v77
	v_fma_f16 v17, v48, v96, -v17
	;; [unrolled: 2-line block ×4, first 2 shown]
	v_mul_f16_e32 v108, v71, v108
	v_mul_f16_e32 v109, v73, v109
	;; [unrolled: 1-line block ×3, first 2 shown]
	v_fmac_f16_e32 v119, v21, v57
	v_fma_f16 v21, v84, v57, -v103
	v_fmac_f16_e32 v120, v33, v58
	v_fma_f16 v33, v85, v58, -v104
	;; [unrolled: 2-line block ×5, first 2 shown]
	v_fmac_f16_e32 v124, v71, v62
	v_fmac_f16_e32 v125, v73, v63
	;; [unrolled: 1-line block ×4, first 2 shown]
	v_fma_f16 v32, v92, v65, -v111
	v_fmac_f16_e64 v128, v72, v66
	v_fma_f16 v49, v93, v66, -v112
	v_fma_f16 v59, v94, v67, -v113
	v_fmac_f16_e64 v130, v76, v68
	v_fma_f16 v60, v95, v68, -v114
	v_add_f16_e32 v61, v116, v117
	v_add_f16_e32 v66, v115, v118
	;; [unrolled: 1-line block ×4, first 2 shown]
	v_fma_f16 v48, v89, v62, -v108
	v_fma_f16 v57, v90, v63, -v109
	;; [unrolled: 1-line block ×3, first 2 shown]
	v_fmac_f16_e64 v129, v74, v67
	v_add_f16_e32 v47, v31, v115
	v_sub_f16_e32 v62, v15, v69
	v_sub_f16_e32 v63, v17, v51
	v_add_f16_e32 v70, v80, v15
	v_sub_f16_e32 v72, v115, v118
	v_sub_f16_e32 v73, v116, v117
	v_add_f16_e32 v78, v30, v119
	v_add_f16_e32 v83, v120, v121
	v_sub_f16_e32 v84, v21, v52
	v_add_f16_e32 v91, v81, v21
	v_add_f16_e32 v92, v33, v50
	v_sub_f16_e32 v95, v21, v33
	v_add_f16_e32 v97, v21, v52
	v_sub_f16_e32 v21, v33, v21
	v_sub_f16_e32 v98, v50, v52
	v_add_f16_e32 v102, v124, v125
	v_sub_f16_e32 v105, v123, v124
	v_sub_f16_e32 v106, v126, v125
	v_add_f16_e64 v140, v46, v32
	v_add_f16_e64 v141, v49, v59
	;; [unrolled: 1-line block ×3, first 2 shown]
	v_fma_f16 v61, -0.5, v61, v31
	v_fmac_f16_e32 v31, -0.5, v66
	v_fma_f16 v66, -0.5, v71, v80
	v_fmac_f16_e32 v80, -0.5, v76
	v_add_f16_e32 v88, v119, v122
	v_sub_f16_e32 v64, v115, v116
	v_sub_f16_e32 v65, v118, v117
	;; [unrolled: 1-line block ×12, first 2 shown]
	v_add_f16_e32 v101, v29, v123
	v_sub_f16_e32 v108, v124, v123
	v_sub_f16_e32 v109, v125, v126
	v_add_f16_e32 v110, v82, v22
	v_sub_f16_e64 v133, v32, v60
	v_sub_f16_e64 v134, v49, v59
	;; [unrolled: 1-line block ×4, first 2 shown]
	v_sub_f16_e32 v32, v49, v32
	v_add_f16_e32 v116, v47, v116
	v_add_f16_e32 v17, v70, v17
	;; [unrolled: 1-line block ×3, first 2 shown]
	v_fma_f16 v71, -0.5, v83, v30
	v_fma_f16 v76, -0.5, v92, v81
	v_fmac_f16_e32 v81, -0.5, v97
	v_add_f16_e32 v78, v21, v98
	v_fma_f16 v47, -0.5, v102, v29
	v_add_f16_e32 v83, v105, v106
	v_add_f16_e64 v92, v140, v49
	v_fma_f16 v49, -0.5, v141, v46
	v_fmac_f16_e64 v46, -0.5, v145
	v_fmamk_f16 v97, v62, 0xbb9c, v61
	v_fmamk_f16 v98, v63, 0x3b9c, v31
	v_fmac_f16_e32 v31, 0xbb9c, v63
	v_fmamk_f16 v102, v72, 0x3b9c, v66
	v_fmamk_f16 v105, v73, 0xbb9c, v80
	v_fmac_f16_e32 v80, 0x3b9c, v73
	v_sub_f16_e32 v85, v33, v50
	v_sub_f16_e32 v94, v120, v121
	v_add_f16_e32 v107, v123, v126
	v_fmac_f16_e32 v30, -0.5, v88
	v_fmac_f16_e32 v61, 0x3b9c, v62
	v_fmac_f16_e32 v66, 0xbb9c, v72
	v_add_f16_e32 v111, v48, v57
	v_sub_f16_e32 v89, v120, v119
	v_add_f16_e32 v119, v22, v58
	v_sub_f16_e32 v90, v121, v122
	v_sub_f16_e32 v103, v22, v58
	;; [unrolled: 1-line block ×6, first 2 shown]
	v_add_f16_e64 v131, v18, v127
	v_add_f16_e64 v132, v128, v129
	v_sub_f16_e64 v135, v127, v128
	v_add_f16_e64 v137, v127, v130
	v_sub_f16_e64 v138, v128, v127
	v_sub_f16_e64 v127, v127, v130
	;; [unrolled: 1-line block ×3, first 2 shown]
	v_add_f16_e32 v64, v64, v65
	v_add_f16_e32 v65, v67, v68
	;; [unrolled: 1-line block ×12, first 2 shown]
	v_fmamk_f16 v106, v84, 0xbb9c, v71
	v_fmamk_f16 v108, v93, 0x3b9c, v76
	v_fma_f16 v51, 0xbb9c, v142, v46
	v_fmac_f16_e64 v46, 0x3b9c, v142
	v_fmac_f16_e32 v97, 0xb8b4, v63
	v_fmac_f16_e32 v98, 0xb8b4, v62
	;; [unrolled: 1-line block ×6, first 2 shown]
	v_fmac_f16_e32 v29, -0.5, v107
	v_fmamk_f16 v107, v85, 0x3b9c, v30
	v_fmac_f16_e32 v30, 0xbb9c, v85
	v_fmamk_f16 v109, v94, 0xbb9c, v81
	v_fmac_f16_e32 v81, 0x3b9c, v94
	v_fmac_f16_e32 v61, 0x38b4, v63
	;; [unrolled: 1-line block ×3, first 2 shown]
	v_sub_f16_e32 v104, v48, v57
	v_fma_f16 v48, -0.5, v111, v82
	v_fmac_f16_e32 v71, 0x3b9c, v84
	v_fmac_f16_e32 v76, 0xbb9c, v93
	v_sub_f16_e32 v113, v124, v125
	v_sub_f16_e32 v115, v58, v57
	v_fmac_f16_e32 v82, -0.5, v119
	v_sub_f16_e64 v144, v60, v59
	v_add_f16_e32 v75, v89, v90
	v_add_f16_e32 v89, v22, v123
	v_add_f16_e64 v22, v131, v128
	v_fma_f16 v15, -0.5, v132, v18
	v_add_f16_e64 v32, v32, v146
	v_add_f16_e32 v70, v70, v121
	v_add_f16_e32 v33, v33, v50
	;; [unrolled: 1-line block ×6, first 2 shown]
	v_fmac_f16_e32 v106, 0xb8b4, v85
	v_fmac_f16_e32 v108, 0x38b4, v94
	;; [unrolled: 1-line block ×10, first 2 shown]
	v_fmac_f16_e64 v18, -0.5, v137
	v_fmac_f16_e32 v107, 0xb8b4, v84
	v_fmac_f16_e32 v30, 0x38b4, v84
	;; [unrolled: 1-line block ×6, first 2 shown]
	v_fmamk_f16 v110, v103, 0xbb9c, v47
	v_fmamk_f16 v87, v112, 0x3b9c, v48
	v_fmac_f16_e32 v71, 0x38b4, v85
	v_fmac_f16_e32 v76, 0xb8b4, v94
	v_add_f16_e32 v88, v114, v115
	v_fmamk_f16 v111, v104, 0x3b9c, v29
	v_fmac_f16_e32 v29, 0xbb9c, v104
	v_fmamk_f16 v114, v113, 0xbb9c, v82
	v_fmac_f16_e32 v82, 0x3b9c, v113
	v_fmac_f16_e32 v47, 0x3b9c, v103
	;; [unrolled: 1-line block ×3, first 2 shown]
	v_sub_f16_e64 v136, v130, v129
	v_add_f16_e64 v115, v22, v129
	v_fma_f16 v22, 0xbb9c, v133, v15
	v_fmamk_f16 v50, v127, 0x3b9c, v49
	v_add_f16_e32 v63, v70, v122
	v_add_f16_e32 v33, v33, v52
	;; [unrolled: 1-line block ×4, first 2 shown]
	v_fmac_f16_e32 v106, 0x34f2, v74
	v_fmac_f16_e32 v108, 0x34f2, v77
	;; [unrolled: 1-line block ×4, first 2 shown]
	v_pack_b32_f16 v32, v92, v62
	v_pack_b32_f16 v58, v97, v102
	v_pack_b32_f16 v59, v98, v105
	v_pack_b32_f16 v31, v31, v80
	v_sub_f16_e64 v139, v129, v130
	v_fma_f16 v17, 0x3b9c, v134, v18
	v_fmac_f16_e64 v18, 0xbb9c, v134
	v_fmac_f16_e32 v107, 0x34f2, v75
	v_fmac_f16_e32 v30, 0x34f2, v75
	v_fmac_f16_e32 v109, 0x34f2, v78
	v_fmac_f16_e32 v81, 0x34f2, v78
	v_pack_b32_f16 v60, v61, v66
	v_add_f16_e32 v21, v21, v125
	v_fmac_f16_e64 v15, 0x3b9c, v133
	v_fmac_f16_e32 v49, 0xbb9c, v127
	v_fmac_f16_e32 v110, 0xb8b4, v104
	;; [unrolled: 1-line block ×11, first 2 shown]
	v_add_f16_e64 v90, v135, v136
	v_add_f16_e64 v95, v143, v144
	v_fmac_f16_e64 v22, 0xb8b4, v134
	v_fmac_f16_e64 v50, 0x38b4, v142
	ds_store_2addr_b32 v19, v32, v58 offset1:36
	ds_store_2addr_b32 v19, v59, v31 offset0:72 offset1:108
	ds_store_b32 v19, v60 offset:576
	v_add3_u32 v19, 0, v23, v34
	v_pack_b32_f16 v23, v63, v33
	v_pack_b32_f16 v31, v106, v108
	v_add_f16_e64 v91, v138, v139
	v_fmac_f16_e64 v17, 0xb8b4, v133
	v_fmac_f16_e64 v18, 0x38b4, v133
	v_pack_b32_f16 v32, v107, v109
	v_pack_b32_f16 v30, v30, v81
	v_add_f16_e32 v69, v21, v126
	v_fmac_f16_e64 v15, 0x38b4, v134
	v_fmac_f16_e64 v49, 0xb8b4, v142
	v_fmac_f16_e32 v110, 0x34f2, v83
	v_fmac_f16_e32 v87, 0x34f2, v88
	v_pack_b32_f16 v33, v71, v76
	v_fmac_f16_e32 v111, 0x34f2, v86
	v_fmac_f16_e32 v29, 0x34f2, v86
	;; [unrolled: 1-line block ×6, first 2 shown]
	v_add_f16_e64 v21, v115, v130
	v_fmac_f16_e32 v22, 0x34f2, v90
	v_fmac_f16_e32 v50, 0x34f2, v95
	ds_store_2addr_b32 v19, v23, v31 offset1:36
	ds_store_2addr_b32 v19, v32, v30 offset0:72 offset1:108
	ds_store_b32 v19, v33 offset:576
	v_mul_u32_u24_e32 v19, 0x2d0, v24
	v_fmac_f16_e32 v17, 0x34f2, v91
	v_fmac_f16_e32 v18, 0x34f2, v91
	;; [unrolled: 1-line block ×4, first 2 shown]
	v_pack_b32_f16 v34, v69, v57
	v_pack_b32_f16 v57, v110, v87
	;; [unrolled: 1-line block ×5, first 2 shown]
	v_add3_u32 v19, 0, v19, v100
	v_pack_b32_f16 v30, v21, v52
	v_pack_b32_f16 v31, v22, v50
	v_pack_b32_f16 v32, v17, v51
	v_pack_b32_f16 v33, v18, v46
	ds_store_2addr_b32 v28, v34, v57 offset1:36
	v_pack_b32_f16 v34, v15, v49
	ds_store_2addr_b32 v28, v23, v24 offset0:72 offset1:108
	ds_store_b32 v28, v29 offset:576
	ds_store_2addr_b32 v19, v30, v31 offset1:36
	ds_store_2addr_b32 v19, v32, v33 offset0:72 offset1:108
	ds_store_b32 v19, v34 offset:576
	v_add_nc_u32_e32 v19, 0x200, v35
	global_wb scope:SCOPE_SE
	s_wait_dscnt 0x0
	s_barrier_signal -1
	s_barrier_wait -1
	global_inv scope:SCOPE_SE
	ds_load_2addr_b32 v[23:24], v35 offset1:180
	ds_load_2addr_b32 v[33:34], v19 offset0:115 offset1:232
	ds_load_2addr_b32 v[31:32], v26 offset0:39 offset1:156
	;; [unrolled: 1-line block ×5, first 2 shown]
	ds_load_b32 v56, v43
	ds_load_b32 v57, v35 offset:4572
	s_and_saveexec_b32 s1, s0
	s_cbranch_execz .LBB0_23
; %bb.22:
	ds_load_b32 v47, v42
	ds_load_2addr_b32 v[21:22], v54 offset0:50 offset1:230
	ds_load_2addr_b32 v[17:18], v53 offset0:26 offset1:206
	;; [unrolled: 1-line block ×3, first 2 shown]
	s_wait_dscnt 0x3
	v_lshrrev_b32_e32 v48, 16, v47
	s_wait_dscnt 0x2
	v_lshrrev_b32_e32 v52, 16, v21
	v_lshrrev_b32_e32 v50, 16, v22
	s_wait_dscnt 0x1
	v_lshrrev_b32_e32 v51, 16, v17
	;; [unrolled: 3-line block ×3, first 2 shown]
	v_lshrrev_b32_e32 v45, 16, v16
.LBB0_23:
	s_wait_alu 0xfffe
	s_or_b32 exec_lo, exec_lo, s1
	v_mul_u32_u24_e32 v19, 6, v0
	s_wait_dscnt 0x2
	v_lshrrev_b32_e32 v71, 16, v26
	v_lshrrev_b32_e32 v72, 16, v28
	;; [unrolled: 1-line block ×4, first 2 shown]
	v_lshlrev_b32_e32 v53, 2, v19
	v_mul_i32_i24_e32 v19, 6, v2
	v_lshrrev_b32_e32 v75, 16, v34
	v_lshrrev_b32_e32 v76, 16, v24
	;; [unrolled: 1-line block ×3, first 2 shown]
	s_clause 0x1
	global_load_b128 v[58:61], v53, s[4:5] offset:712
	global_load_b64 v[53:54], v53, s[4:5] offset:728
	v_lshlrev_b64_e32 v[19:20], 2, v[19:20]
	s_wait_dscnt 0x0
	v_lshrrev_b32_e32 v68, 16, v57
	v_lshrrev_b32_e32 v69, 16, v31
	;; [unrolled: 1-line block ×5, first 2 shown]
	v_add_co_u32 v19, s1, s4, v19
	s_wait_alu 0xf1ff
	v_add_co_ci_u32_e64 v20, s1, s5, v20, s1
	v_lshrrev_b32_e32 v77, 16, v23
	v_lshrrev_b32_e32 v78, 16, v56
	s_clause 0x1
	global_load_b128 v[62:65], v[19:20], off offset:712
	global_load_b64 v[19:20], v[19:20], off offset:728
	v_add_nc_u32_e32 v79, 0x500, v35
	v_add_nc_u32_e32 v80, 0xb00, v35
	global_wb scope:SCOPE_SE
	s_wait_loadcnt 0x0
	s_barrier_signal -1
	s_barrier_wait -1
	global_inv scope:SCOPE_SE
	v_add_nc_u32_e32 v81, 0x500, v43
	v_add_nc_u32_e32 v82, 0xb00, v43
	v_lshrrev_b32_e32 v83, 16, v58
	v_lshrrev_b32_e32 v84, 16, v59
	;; [unrolled: 1-line block ×6, first 2 shown]
	v_mul_f16_e32 v89, v83, v76
	v_mul_f16_e32 v83, v83, v24
	;; [unrolled: 1-line block ×12, first 2 shown]
	v_lshrrev_b32_e32 v95, 16, v62
	v_lshrrev_b32_e32 v96, 16, v63
	;; [unrolled: 1-line block ×6, first 2 shown]
	v_fmac_f16_e32 v89, v58, v24
	v_fma_f16 v24, v58, v76, -v83
	v_fmac_f16_e32 v90, v59, v34
	v_fma_f16 v34, v59, v75, -v84
	;; [unrolled: 2-line block ×6, first 2 shown]
	v_mul_f16_e32 v53, v95, v70
	v_mul_f16_e32 v54, v95, v33
	;; [unrolled: 1-line block ×12, first 2 shown]
	v_add_f16_e32 v83, v89, v94
	v_add_f16_e32 v84, v24, v26
	v_sub_f16_e32 v85, v89, v94
	v_sub_f16_e32 v24, v24, v26
	v_add_f16_e32 v26, v90, v93
	v_add_f16_e32 v86, v34, v28
	v_sub_f16_e32 v87, v90, v93
	v_sub_f16_e32 v28, v34, v28
	;; [unrolled: 4-line block ×3, first 2 shown]
	v_fmac_f16_e32 v53, v62, v33
	v_fma_f16 v32, v62, v70, -v54
	v_fmac_f16_e32 v58, v63, v31
	v_fma_f16 v31, v63, v69, -v59
	;; [unrolled: 2-line block ×6, first 2 shown]
	v_add_f16_e32 v25, v26, v83
	v_add_f16_e32 v33, v86, v84
	v_sub_f16_e32 v54, v26, v83
	v_sub_f16_e32 v57, v83, v34
	;; [unrolled: 1-line block ×5, first 2 shown]
	v_add_f16_e32 v62, v89, v87
	v_add_f16_e32 v63, v30, v28
	v_sub_f16_e32 v64, v89, v87
	v_sub_f16_e32 v65, v30, v28
	;; [unrolled: 1-line block ×4, first 2 shown]
	v_add_f16_e32 v68, v53, v75
	v_add_f16_e32 v69, v32, v20
	v_sub_f16_e32 v20, v32, v20
	v_add_f16_e32 v32, v58, v73
	v_add_f16_e32 v70, v31, v19
	v_sub_f16_e32 v55, v86, v84
	v_sub_f16_e32 v66, v85, v89
	;; [unrolled: 1-line block ×6, first 2 shown]
	v_add_f16_e32 v31, v60, v71
	v_add_f16_e32 v72, v29, v27
	v_sub_f16_e32 v60, v71, v60
	v_sub_f16_e32 v27, v27, v29
	v_add_f16_e32 v25, v34, v25
	v_add_f16_e32 v29, v88, v33
	;; [unrolled: 1-line block ×4, first 2 shown]
	v_mul_f16_e32 v34, 0x3a52, v57
	v_mul_f16_e32 v57, 0x3a52, v59
	v_mul_f16_e32 v59, 0x2b26, v26
	v_mul_f16_e32 v62, 0x2b26, v61
	v_mul_f16_e32 v63, 0x3846, v64
	v_mul_f16_e32 v64, 0x3846, v65
	v_mul_f16_e32 v65, 0xbb00, v67
	v_mul_f16_e32 v71, 0xbb00, v28
	v_add_f16_e32 v73, v32, v68
	v_add_f16_e32 v74, v70, v69
	v_sub_f16_e32 v75, v32, v68
	v_sub_f16_e32 v76, v70, v69
	;; [unrolled: 1-line block ×5, first 2 shown]
	v_add_f16_e32 v83, v60, v58
	v_add_f16_e32 v84, v27, v19
	v_sub_f16_e32 v85, v60, v58
	v_sub_f16_e32 v86, v27, v19
	;; [unrolled: 1-line block ×4, first 2 shown]
	v_add_f16_e32 v23, v25, v23
	v_add_f16_e32 v77, v29, v77
	v_fmamk_f16 v26, v26, 0x2b26, v34
	v_fmamk_f16 v61, v61, 0x2b26, v57
	v_fma_f16 v59, v54, 0x39e0, -v59
	v_fma_f16 v62, v55, 0x39e0, -v62
	;; [unrolled: 1-line block ×4, first 2 shown]
	v_fmamk_f16 v55, v66, 0xb574, v63
	v_fmamk_f16 v57, v30, 0xb574, v64
	v_fma_f16 v63, v67, 0xbb00, -v63
	v_fma_f16 v28, v28, 0xbb00, -v64
	;; [unrolled: 1-line block ×4, first 2 shown]
	v_add_f16_e32 v31, v31, v73
	v_add_f16_e32 v65, v72, v74
	v_sub_f16_e32 v70, v72, v70
	v_sub_f16_e32 v60, v53, v60
	;; [unrolled: 1-line block ×3, first 2 shown]
	v_mul_f16_e32 v66, 0x3a52, v68
	v_mul_f16_e32 v67, 0x3a52, v69
	;; [unrolled: 1-line block ×7, first 2 shown]
	v_fmamk_f16 v25, v25, 0xbcab, v23
	v_fmamk_f16 v29, v29, 0xbcab, v77
	v_fmac_f16_e32 v55, 0xb70e, v33
	v_fmac_f16_e32 v57, 0xb70e, v24
	;; [unrolled: 1-line block ×6, first 2 shown]
	v_add_f16_e32 v24, v31, v56
	v_add_f16_e32 v33, v65, v78
	v_mul_f16_e32 v69, 0x2b26, v70
	v_add_f16_e32 v53, v83, v53
	v_add_f16_e32 v20, v84, v20
	v_fmamk_f16 v32, v32, 0x2b26, v66
	v_fmamk_f16 v56, v70, 0x2b26, v67
	v_fma_f16 v68, v75, 0x39e0, -v68
	v_fma_f16 v66, v75, 0xb9e0, -v66
	v_fmamk_f16 v70, v60, 0xb574, v71
	v_fmamk_f16 v75, v27, 0xb574, v72
	v_fma_f16 v58, v58, 0xbb00, -v71
	v_fma_f16 v19, v19, 0xbb00, -v72
	;; [unrolled: 1-line block ×4, first 2 shown]
	v_add_f16_e32 v26, v26, v25
	v_add_f16_e32 v61, v61, v29
	;; [unrolled: 1-line block ×6, first 2 shown]
	v_fmamk_f16 v31, v31, 0xbcab, v24
	v_fmamk_f16 v34, v65, 0xbcab, v33
	v_fma_f16 v69, v76, 0x39e0, -v69
	v_fma_f16 v67, v76, 0xb9e0, -v67
	v_fmac_f16_e32 v70, 0xb70e, v53
	v_fmac_f16_e32 v75, 0xb70e, v20
	;; [unrolled: 1-line block ×6, first 2 shown]
	v_pack_b32_f16 v20, v24, v33
	v_add_f16_e32 v24, v57, v26
	v_sub_f16_e32 v33, v61, v55
	v_add_f16_e32 v53, v30, v25
	v_sub_f16_e32 v54, v29, v64
	v_sub_f16_e32 v25, v25, v30
	v_add_f16_e32 v29, v64, v29
	v_sub_f16_e32 v26, v26, v57
	v_add_f16_e32 v30, v55, v61
	v_add_f16_e32 v32, v32, v31
	;; [unrolled: 1-line block ×3, first 2 shown]
	v_sub_f16_e32 v65, v59, v28
	v_add_f16_e32 v71, v63, v62
	v_add_f16_e32 v28, v28, v59
	v_sub_f16_e32 v59, v62, v63
	v_add_f16_e32 v56, v68, v31
	v_add_f16_e32 v57, v69, v34
	;; [unrolled: 1-line block ×4, first 2 shown]
	v_pack_b32_f16 v23, v23, v77
	v_pack_b32_f16 v24, v24, v33
	;; [unrolled: 1-line block ×4, first 2 shown]
	v_add_f16_e32 v29, v75, v32
	v_sub_f16_e32 v30, v55, v70
	v_pack_b32_f16 v33, v53, v54
	v_pack_b32_f16 v53, v65, v71
	;; [unrolled: 1-line block ×3, first 2 shown]
	v_add_f16_e32 v54, v27, v31
	v_sub_f16_e32 v59, v34, v60
	v_sub_f16_e32 v61, v56, v19
	v_add_f16_e32 v62, v58, v57
	v_add_f16_e32 v19, v19, v56
	v_sub_f16_e32 v56, v57, v58
	v_sub_f16_e32 v27, v31, v27
	v_add_f16_e32 v31, v60, v34
	v_sub_f16_e32 v32, v32, v75
	v_add_f16_e32 v34, v70, v55
	ds_store_2addr_b32 v35, v23, v24 offset1:180
	ds_store_2addr_b32 v79, v33, v53 offset0:40 offset1:220
	ds_store_2addr_b32 v80, v28, v25 offset0:16 offset1:196
	v_pack_b32_f16 v23, v29, v30
	v_pack_b32_f16 v24, v54, v59
	;; [unrolled: 1-line block ×6, first 2 shown]
	ds_store_b32 v35, v26 offset:4320
	ds_store_2addr_b32 v43, v20, v23 offset1:180
	ds_store_2addr_b32 v81, v24, v25 offset0:40 offset1:220
	ds_store_2addr_b32 v82, v19, v27 offset0:16 offset1:196
	ds_store_b32 v43, v28 offset:4320
	s_and_saveexec_b32 s1, s0
	s_cbranch_execz .LBB0_25
; %bb.24:
	v_subrev_nc_u32_e32 v19, 54, v0
	v_dual_mov_b32 v20, 0 :: v_dual_add_nc_u32 v27, 0x100, v35
	v_add_nc_u32_e32 v28, 0x700, v35
	v_add_nc_u32_e32 v29, 0xd00, v35
	s_delay_alu instid0(VALU_DEP_4) | instskip(NEXT) | instid1(VALU_DEP_1)
	v_cndmask_b32_e64 v19, v19, v14, s0
	v_mul_i32_i24_e32 v19, 6, v19
	s_delay_alu instid0(VALU_DEP_1) | instskip(NEXT) | instid1(VALU_DEP_1)
	v_lshlrev_b64_e32 v[19:20], 2, v[19:20]
	v_add_co_u32 v19, s0, s4, v19
	s_wait_alu 0xf1ff
	s_delay_alu instid0(VALU_DEP_2)
	v_add_co_ci_u32_e64 v20, s0, s5, v20, s0
	s_clause 0x1
	global_load_b128 v[23:26], v[19:20], off offset:712
	global_load_b64 v[19:20], v[19:20], off offset:728
	s_wait_loadcnt 0x1
	v_lshrrev_b32_e32 v30, 16, v23
	v_lshrrev_b32_e32 v31, 16, v24
	s_wait_loadcnt 0x0
	v_lshrrev_b32_e32 v32, 16, v20
	v_lshrrev_b32_e32 v53, 16, v19
	;; [unrolled: 1-line block ×4, first 2 shown]
	v_mul_f16_e32 v54, v52, v30
	v_mul_f16_e32 v55, v45, v32
	;; [unrolled: 1-line block ×12, first 2 shown]
	v_fmac_f16_e32 v54, v21, v23
	v_fmac_f16_e32 v55, v16, v20
	;; [unrolled: 1-line block ×4, first 2 shown]
	v_fma_f16 v15, v45, v20, -v32
	v_fma_f16 v16, v52, v23, -v30
	;; [unrolled: 1-line block ×4, first 2 shown]
	v_fmac_f16_e32 v56, v18, v26
	v_fmac_f16_e32 v57, v17, v25
	v_fma_f16 v17, v51, v25, -v34
	v_fma_f16 v18, v46, v26, -v33
	v_add_f16_e32 v24, v16, v15
	v_add_f16_e32 v26, v20, v19
	;; [unrolled: 1-line block ×4, first 2 shown]
	v_sub_f16_e32 v21, v54, v55
	v_sub_f16_e32 v22, v56, v57
	;; [unrolled: 1-line block ×3, first 2 shown]
	v_add_f16_e32 v25, v17, v18
	v_add_f16_e32 v31, v57, v56
	v_sub_f16_e32 v15, v16, v15
	v_sub_f16_e32 v16, v18, v17
	v_sub_f16_e32 v17, v20, v19
	v_add_f16_e32 v34, v26, v24
	v_add_f16_e32 v49, v32, v30
	v_sub_f16_e32 v18, v21, v22
	v_sub_f16_e32 v19, v22, v23
	v_add_f16_e32 v20, v22, v23
	v_sub_f16_e32 v22, v24, v25
	v_sub_f16_e32 v33, v25, v26
	;; [unrolled: 1-line block ×6, first 2 shown]
	v_add_f16_e32 v16, v16, v17
	v_sub_f16_e32 v23, v23, v21
	v_add_f16_e32 v25, v25, v34
	v_add_f16_e32 v31, v31, v49
	v_sub_f16_e32 v17, v17, v15
	v_sub_f16_e32 v24, v26, v24
	;; [unrolled: 1-line block ×3, first 2 shown]
	v_mul_f16_e32 v19, 0x3846, v19
	v_add_f16_e32 v20, v20, v21
	v_mul_f16_e32 v21, 0x3a52, v22
	v_mul_f16_e32 v22, 0x2b26, v33
	;; [unrolled: 1-line block ×4, first 2 shown]
	v_add_f16_e32 v15, v16, v15
	v_mul_f16_e32 v16, 0xbb00, v23
	v_add_f16_e32 v48, v48, v25
	v_add_f16_e32 v47, v47, v31
	v_mul_f16_e32 v32, 0x2b26, v46
	v_mul_f16_e32 v45, 0xbb00, v17
	v_fmamk_f16 v49, v18, 0xb574, v19
	v_fmamk_f16 v33, v33, 0x2b26, v21
	;; [unrolled: 1-line block ×4, first 2 shown]
	v_fma_f16 v16, v18, 0x3574, -v16
	v_fma_f16 v18, v24, 0xb9e0, -v21
	v_fma_f16 v22, v24, 0x39e0, -v22
	v_fma_f16 v19, v23, 0xbb00, -v19
	v_fmamk_f16 v24, v25, 0xbcab, v48
	v_fmamk_f16 v25, v31, 0xbcab, v47
	v_fma_f16 v21, v26, 0xb9e0, -v30
	v_fma_f16 v30, v50, 0x3574, -v45
	;; [unrolled: 1-line block ×4, first 2 shown]
	v_fmac_f16_e32 v49, 0xb70e, v20
	v_fmac_f16_e32 v51, 0xb70e, v15
	;; [unrolled: 1-line block ×4, first 2 shown]
	v_add_f16_e32 v20, v33, v24
	v_add_f16_e32 v26, v46, v25
	;; [unrolled: 1-line block ×3, first 2 shown]
	v_fmac_f16_e32 v30, 0xb70e, v15
	v_fmac_f16_e32 v17, 0xb70e, v15
	v_add_f16_e32 v21, v21, v25
	v_add_f16_e32 v22, v22, v24
	;; [unrolled: 1-line block ×5, first 2 shown]
	v_sub_f16_e32 v16, v18, v16
	v_sub_f16_e32 v18, v20, v49
	v_add_f16_e32 v20, v51, v26
	v_sub_f16_e32 v25, v26, v51
	v_sub_f16_e32 v32, v22, v19
	v_add_f16_e32 v19, v19, v22
	v_add_f16_e32 v22, v30, v21
	v_sub_f16_e32 v26, v23, v17
	v_add_f16_e32 v17, v17, v23
	v_sub_f16_e32 v21, v21, v30
	v_pack_b32_f16 v15, v47, v48
	v_pack_b32_f16 v18, v20, v18
	;; [unrolled: 1-line block ×7, first 2 shown]
	ds_store_2addr_b32 v27, v15, v18 offset0:62 offset1:242
	ds_store_2addr_b32 v28, v16, v19 offset0:38 offset1:218
	;; [unrolled: 1-line block ×3, first 2 shown]
	ds_store_b32 v35, v21 offset:4824
.LBB0_25:
	s_wait_alu 0xfffe
	s_or_b32 exec_lo, exec_lo, s1
	global_wb scope:SCOPE_SE
	s_wait_dscnt 0x0
	s_barrier_signal -1
	s_barrier_wait -1
	global_inv scope:SCOPE_SE
	ds_load_b32 v15, v35
	v_sub_nc_u32_e32 v16, 0, v1
	s_mov_b32 s1, exec_lo
                                        ; implicit-def: $vgpr20
                                        ; implicit-def: $vgpr18
                                        ; implicit-def: $vgpr19
	v_cmpx_ne_u32_e32 0, v0
	s_wait_alu 0xfffe
	s_xor_b32 s1, exec_lo, s1
	s_cbranch_execz .LBB0_27
; %bb.26:
	v_mov_b32_e32 v1, 0
	s_delay_alu instid0(VALU_DEP_1) | instskip(NEXT) | instid1(VALU_DEP_1)
	v_lshlrev_b64_e32 v[17:18], 2, v[0:1]
	v_add_co_u32 v17, s0, s4, v17
	s_wait_alu 0xf1ff
	s_delay_alu instid0(VALU_DEP_2)
	v_add_co_ci_u32_e64 v18, s0, s5, v18, s0
	global_load_b32 v1, v[17:18], off offset:5032
	ds_load_b32 v17, v16 offset:5040
	s_wait_dscnt 0x0
	v_pk_add_f16 v18, v15, v17 neg_lo:[0,1] neg_hi:[0,1]
	v_pk_add_f16 v15, v17, v15
	s_delay_alu instid0(VALU_DEP_1) | instskip(SKIP_1) | instid1(VALU_DEP_2)
	v_bfi_b32 v17, 0xffff, v18, v15
	v_bfi_b32 v15, 0xffff, v15, v18
	v_pk_mul_f16 v17, v17, 0.5 op_sel_hi:[1,0]
	s_delay_alu instid0(VALU_DEP_2) | instskip(SKIP_1) | instid1(VALU_DEP_2)
	v_pk_mul_f16 v19, v15, 0.5 op_sel_hi:[1,0]
	s_wait_loadcnt 0x0
	v_pk_mul_f16 v18, v1, v17 op_sel:[1,0]
	v_pk_mul_f16 v1, v1, v17 op_sel_hi:[0,1]
	s_delay_alu instid0(VALU_DEP_3) | instskip(NEXT) | instid1(VALU_DEP_3)
	v_lshrrev_b32_e32 v17, 16, v19
	v_pk_fma_f16 v15, v15, 0.5, v18 op_sel_hi:[1,0,1]
	v_lshrrev_b32_e32 v20, 16, v18
	v_sub_f16_e32 v18, v19, v18
	v_lshrrev_b32_e32 v19, 16, v1
	s_delay_alu instid0(VALU_DEP_4) | instskip(SKIP_2) | instid1(VALU_DEP_4)
	v_pk_add_f16 v21, v15, v1 op_sel:[0,1] op_sel_hi:[1,0]
	v_pk_add_f16 v15, v15, v1 op_sel:[0,1] op_sel_hi:[1,0] neg_lo:[0,1] neg_hi:[0,1]
	v_sub_f16_e32 v17, v20, v17
	v_sub_f16_e32 v18, v18, v19
	s_delay_alu instid0(VALU_DEP_3) | instskip(NEXT) | instid1(VALU_DEP_3)
	v_bfi_b32 v20, 0xffff, v21, v15
	v_sub_f16_e32 v19, v17, v1
                                        ; implicit-def: $vgpr15
.LBB0_27:
	s_wait_alu 0xfffe
	s_or_saveexec_b32 s0, s1
	v_sub_nc_u32_e32 v17, 0, v3
	v_sub_nc_u32_e32 v1, 0, v8
	s_wait_alu 0xfffe
	s_xor_b32 exec_lo, exec_lo, s0
	s_cbranch_execz .LBB0_29
; %bb.28:
	v_mov_b32_e32 v19, 0
	s_wait_dscnt 0x0
	v_alignbit_b32 v8, s0, v15, 16
	v_lshrrev_b32_e32 v18, 16, v15
	ds_load_u16 v3, v19 offset:2522
	v_pk_add_f16 v8, v8, v15
	v_sub_f16_e32 v18, v15, v18
	s_delay_alu instid0(VALU_DEP_2)
	v_pack_b32_f16 v20, v8, 0
	s_wait_dscnt 0x0
	v_xor_b32_e32 v3, 0x8000, v3
	ds_store_b16 v19, v3 offset:2522
.LBB0_29:
	s_or_b32 exec_lo, exec_lo, s0
	v_mov_b32_e32 v3, 0
	v_add_nc_u32_e32 v1, v36, v1
	s_delay_alu instid0(VALU_DEP_2) | instskip(SKIP_2) | instid1(VALU_DEP_2)
	v_lshlrev_b64_e32 v[21:22], 2, v[2:3]
	s_wait_dscnt 0x0
	v_dual_mov_b32 v15, v3 :: v_dual_mov_b32 v8, v3
	v_add_co_u32 v21, s0, s4, v21
	s_wait_alu 0xf1ff
	s_delay_alu instid0(VALU_DEP_3) | instskip(NEXT) | instid1(VALU_DEP_3)
	v_add_co_ci_u32_e64 v22, s0, s5, v22, s0
	v_lshlrev_b64_e32 v[14:15], 2, v[14:15]
	v_lshlrev_b64_e32 v[7:8], 2, v[7:8]
	global_load_b32 v2, v[21:22], off offset:5032
	v_add_co_u32 v14, s0, s4, v14
	s_wait_alu 0xf1ff
	v_add_co_ci_u32_e64 v15, s0, s5, v15, s0
	global_load_b32 v15, v[14:15], off offset:5032
	v_mov_b32_e32 v14, v3
	s_delay_alu instid0(VALU_DEP_1) | instskip(NEXT) | instid1(VALU_DEP_1)
	v_lshlrev_b64_e32 v[13:14], 2, v[13:14]
	v_add_co_u32 v13, s0, s4, v13
	s_wait_alu 0xf1ff
	s_delay_alu instid0(VALU_DEP_2) | instskip(SKIP_2) | instid1(VALU_DEP_1)
	v_add_co_ci_u32_e64 v14, s0, s5, v14, s0
	global_load_b32 v14, v[13:14], off offset:5032
	v_mov_b32_e32 v13, v3
	v_lshlrev_b64_e32 v[12:13], 2, v[12:13]
	s_delay_alu instid0(VALU_DEP_1) | instskip(SKIP_1) | instid1(VALU_DEP_2)
	v_add_co_u32 v12, s0, s4, v12
	s_wait_alu 0xf1ff
	v_add_co_ci_u32_e64 v13, s0, s5, v13, s0
	global_load_b32 v13, v[12:13], off offset:5032
	v_mov_b32_e32 v12, v3
	s_delay_alu instid0(VALU_DEP_1) | instskip(NEXT) | instid1(VALU_DEP_1)
	v_lshlrev_b64_e32 v[11:12], 2, v[11:12]
	v_add_co_u32 v11, s0, s4, v11
	s_wait_alu 0xf1ff
	s_delay_alu instid0(VALU_DEP_2)
	v_add_co_ci_u32_e64 v12, s0, s5, v12, s0
	global_load_b32 v12, v[11:12], off offset:5032
	v_mov_b32_e32 v11, v3
	ds_store_b16 v16, v19 offset:5042
	ds_store_b32 v35, v20
	ds_store_b16 v16, v18 offset:5040
	ds_load_b32 v18, v43
	ds_load_b32 v19, v16 offset:4788
	v_lshlrev_b64_e32 v[10:11], 2, v[10:11]
	s_delay_alu instid0(VALU_DEP_1) | instskip(SKIP_1) | instid1(VALU_DEP_2)
	v_add_co_u32 v10, s0, s4, v10
	s_wait_alu 0xf1ff
	v_add_co_ci_u32_e64 v11, s0, s5, v11, s0
	v_add_co_u32 v7, s0, s4, v7
	s_wait_alu 0xf1ff
	v_add_co_ci_u32_e64 v8, s0, s5, v8, s0
	global_load_b32 v11, v[10:11], off offset:5032
	v_mov_b32_e32 v10, v3
	s_wait_dscnt 0x0
	v_pk_add_f16 v20, v18, v19 neg_lo:[0,1] neg_hi:[0,1]
	v_pk_add_f16 v18, v18, v19
	s_delay_alu instid0(VALU_DEP_3) | instskip(NEXT) | instid1(VALU_DEP_2)
	v_lshlrev_b64_e32 v[9:10], 2, v[9:10]
	v_bfi_b32 v19, 0xffff, v20, v18
	v_bfi_b32 v18, 0xffff, v18, v20
	s_delay_alu instid0(VALU_DEP_3) | instskip(SKIP_1) | instid1(VALU_DEP_4)
	v_add_co_u32 v9, s0, s4, v9
	s_wait_alu 0xf1ff
	v_add_co_ci_u32_e64 v10, s0, s5, v10, s0
	v_pk_mul_f16 v19, v19, 0.5 op_sel_hi:[1,0]
	v_pk_mul_f16 v18, v18, 0.5 op_sel_hi:[1,0]
	s_clause 0x1
	global_load_b32 v8, v[7:8], off offset:5032
	global_load_b32 v9, v[9:10], off offset:5032
	s_wait_loadcnt 0x7
	v_pk_fma_f16 v7, v2, v19, v18 op_sel:[1,0,0]
	v_pk_mul_f16 v10, v2, v19 op_sel_hi:[0,1]
	v_pk_fma_f16 v20, v2, v19, v18 op_sel:[1,0,0] neg_lo:[1,0,0] neg_hi:[1,0,0]
	v_pk_fma_f16 v2, v2, v19, v18 op_sel:[1,0,0] neg_lo:[0,0,1] neg_hi:[0,0,1]
	s_delay_alu instid0(VALU_DEP_3) | instskip(SKIP_1) | instid1(VALU_DEP_4)
	v_pk_add_f16 v18, v7, v10 op_sel:[0,1] op_sel_hi:[1,0]
	v_pk_add_f16 v7, v7, v10 op_sel:[0,1] op_sel_hi:[1,0] neg_lo:[0,1] neg_hi:[0,1]
	v_pk_add_f16 v19, v20, v10 op_sel:[0,1] op_sel_hi:[1,0] neg_lo:[0,1] neg_hi:[0,1]
	s_delay_alu instid0(VALU_DEP_4) | instskip(NEXT) | instid1(VALU_DEP_3)
	v_pk_add_f16 v2, v2, v10 op_sel:[0,1] op_sel_hi:[1,0] neg_lo:[0,1] neg_hi:[0,1]
	v_bfi_b32 v7, 0xffff, v18, v7
	s_delay_alu instid0(VALU_DEP_2)
	v_bfi_b32 v2, 0xffff, v19, v2
	ds_store_b32 v43, v7
	ds_store_b32 v16, v2 offset:4788
	ds_load_b32 v2, v42
	ds_load_b32 v7, v16 offset:4536
	s_wait_dscnt 0x0
	v_pk_add_f16 v10, v2, v7 neg_lo:[0,1] neg_hi:[0,1]
	v_pk_add_f16 v2, v2, v7
	s_delay_alu instid0(VALU_DEP_1) | instskip(SKIP_1) | instid1(VALU_DEP_2)
	v_bfi_b32 v7, 0xffff, v10, v2
	v_bfi_b32 v2, 0xffff, v2, v10
	v_pk_mul_f16 v7, v7, 0.5 op_sel_hi:[1,0]
	s_delay_alu instid0(VALU_DEP_2) | instskip(SKIP_1) | instid1(VALU_DEP_2)
	v_pk_mul_f16 v2, v2, 0.5 op_sel_hi:[1,0]
	s_wait_loadcnt 0x6
	v_pk_mul_f16 v18, v15, v7 op_sel_hi:[0,1]
	s_delay_alu instid0(VALU_DEP_2) | instskip(SKIP_2) | instid1(VALU_DEP_3)
	v_pk_fma_f16 v10, v15, v7, v2 op_sel:[1,0,0]
	v_pk_fma_f16 v19, v15, v7, v2 op_sel:[1,0,0] neg_lo:[1,0,0] neg_hi:[1,0,0]
	v_pk_fma_f16 v2, v15, v7, v2 op_sel:[1,0,0] neg_lo:[0,0,1] neg_hi:[0,0,1]
	v_pk_add_f16 v7, v10, v18 op_sel:[0,1] op_sel_hi:[1,0]
	v_pk_add_f16 v10, v10, v18 op_sel:[0,1] op_sel_hi:[1,0] neg_lo:[0,1] neg_hi:[0,1]
	s_delay_alu instid0(VALU_DEP_4) | instskip(NEXT) | instid1(VALU_DEP_4)
	v_pk_add_f16 v15, v19, v18 op_sel:[0,1] op_sel_hi:[1,0] neg_lo:[0,1] neg_hi:[0,1]
	v_pk_add_f16 v2, v2, v18 op_sel:[0,1] op_sel_hi:[1,0] neg_lo:[0,1] neg_hi:[0,1]
	s_delay_alu instid0(VALU_DEP_3) | instskip(NEXT) | instid1(VALU_DEP_2)
	v_bfi_b32 v7, 0xffff, v7, v10
	v_bfi_b32 v2, 0xffff, v15, v2
	ds_store_b32 v42, v7
	ds_store_b32 v16, v2 offset:4536
	ds_load_b32 v2, v41
	ds_load_b32 v7, v16 offset:4284
	s_wait_dscnt 0x0
	v_pk_add_f16 v10, v2, v7 neg_lo:[0,1] neg_hi:[0,1]
	v_pk_add_f16 v2, v2, v7
	s_delay_alu instid0(VALU_DEP_1) | instskip(SKIP_1) | instid1(VALU_DEP_2)
	v_bfi_b32 v7, 0xffff, v10, v2
	v_bfi_b32 v2, 0xffff, v2, v10
	v_pk_mul_f16 v7, v7, 0.5 op_sel_hi:[1,0]
	s_delay_alu instid0(VALU_DEP_2) | instskip(SKIP_1) | instid1(VALU_DEP_2)
	v_pk_mul_f16 v2, v2, 0.5 op_sel_hi:[1,0]
	s_wait_loadcnt 0x5
	v_pk_mul_f16 v15, v14, v7 op_sel_hi:[0,1]
	s_delay_alu instid0(VALU_DEP_2) | instskip(SKIP_3) | instid1(VALU_DEP_4)
	v_pk_fma_f16 v10, v14, v7, v2 op_sel:[1,0,0]
	v_pk_fma_f16 v18, v14, v7, v2 op_sel:[1,0,0] neg_lo:[1,0,0] neg_hi:[1,0,0]
	v_pk_fma_f16 v2, v14, v7, v2 op_sel:[1,0,0] neg_lo:[0,0,1] neg_hi:[0,0,1]
	v_mov_b32_e32 v7, v3
	v_pk_add_f16 v14, v10, v15 op_sel:[0,1] op_sel_hi:[1,0]
	v_pk_add_f16 v10, v10, v15 op_sel:[0,1] op_sel_hi:[1,0] neg_lo:[0,1] neg_hi:[0,1]
	v_pk_add_f16 v18, v18, v15 op_sel:[0,1] op_sel_hi:[1,0] neg_lo:[0,1] neg_hi:[0,1]
	s_delay_alu instid0(VALU_DEP_4) | instskip(SKIP_1) | instid1(VALU_DEP_4)
	v_lshlrev_b64_e32 v[6:7], 2, v[6:7]
	v_pk_add_f16 v2, v2, v15 op_sel:[0,1] op_sel_hi:[1,0] neg_lo:[0,1] neg_hi:[0,1]
	v_bfi_b32 v10, 0xffff, v14, v10
	s_delay_alu instid0(VALU_DEP_3) | instskip(NEXT) | instid1(VALU_DEP_3)
	v_add_co_u32 v6, s0, s4, v6
	v_bfi_b32 v2, 0xffff, v18, v2
	s_wait_alu 0xf1ff
	v_add_co_ci_u32_e64 v7, s0, s5, v7, s0
	ds_store_b32 v41, v10
	ds_store_b32 v16, v2 offset:4284
	ds_load_b32 v2, v40
	ds_load_b32 v10, v16 offset:4032
	global_load_b32 v6, v[6:7], off offset:5032
	s_wait_dscnt 0x0
	v_pk_add_f16 v7, v2, v10 neg_lo:[0,1] neg_hi:[0,1]
	v_pk_add_f16 v2, v2, v10
	s_delay_alu instid0(VALU_DEP_1) | instskip(SKIP_1) | instid1(VALU_DEP_2)
	v_bfi_b32 v10, 0xffff, v7, v2
	v_bfi_b32 v2, 0xffff, v2, v7
	v_pk_mul_f16 v7, v10, 0.5 op_sel_hi:[1,0]
	s_delay_alu instid0(VALU_DEP_2) | instskip(SKIP_1) | instid1(VALU_DEP_2)
	v_pk_mul_f16 v2, v2, 0.5 op_sel_hi:[1,0]
	s_wait_loadcnt 0x5
	v_pk_mul_f16 v14, v13, v7 op_sel_hi:[0,1]
	s_delay_alu instid0(VALU_DEP_2) | instskip(SKIP_2) | instid1(VALU_DEP_3)
	v_pk_fma_f16 v10, v13, v7, v2 op_sel:[1,0,0]
	v_pk_fma_f16 v15, v13, v7, v2 op_sel:[1,0,0] neg_lo:[1,0,0] neg_hi:[1,0,0]
	v_pk_fma_f16 v2, v13, v7, v2 op_sel:[1,0,0] neg_lo:[0,0,1] neg_hi:[0,0,1]
	v_pk_add_f16 v7, v10, v14 op_sel:[0,1] op_sel_hi:[1,0]
	v_pk_add_f16 v10, v10, v14 op_sel:[0,1] op_sel_hi:[1,0] neg_lo:[0,1] neg_hi:[0,1]
	s_delay_alu instid0(VALU_DEP_4) | instskip(NEXT) | instid1(VALU_DEP_4)
	v_pk_add_f16 v13, v15, v14 op_sel:[0,1] op_sel_hi:[1,0] neg_lo:[0,1] neg_hi:[0,1]
	v_pk_add_f16 v2, v2, v14 op_sel:[0,1] op_sel_hi:[1,0] neg_lo:[0,1] neg_hi:[0,1]
	s_delay_alu instid0(VALU_DEP_3) | instskip(NEXT) | instid1(VALU_DEP_2)
	v_bfi_b32 v7, 0xffff, v7, v10
	v_bfi_b32 v2, 0xffff, v13, v2
	ds_store_b32 v40, v7
	ds_store_b32 v16, v2 offset:4032
	ds_load_b32 v2, v39
	ds_load_b32 v7, v16 offset:3780
	s_wait_dscnt 0x0
	v_pk_add_f16 v10, v2, v7 neg_lo:[0,1] neg_hi:[0,1]
	v_pk_add_f16 v2, v2, v7
	s_delay_alu instid0(VALU_DEP_1) | instskip(SKIP_1) | instid1(VALU_DEP_2)
	v_bfi_b32 v7, 0xffff, v10, v2
	v_bfi_b32 v2, 0xffff, v2, v10
	v_pk_mul_f16 v7, v7, 0.5 op_sel_hi:[1,0]
	s_delay_alu instid0(VALU_DEP_2) | instskip(SKIP_1) | instid1(VALU_DEP_2)
	v_pk_mul_f16 v2, v2, 0.5 op_sel_hi:[1,0]
	s_wait_loadcnt 0x4
	v_pk_mul_f16 v13, v12, v7 op_sel_hi:[0,1]
	s_delay_alu instid0(VALU_DEP_2) | instskip(SKIP_2) | instid1(VALU_DEP_3)
	v_pk_fma_f16 v10, v12, v7, v2 op_sel:[1,0,0]
	v_pk_fma_f16 v14, v12, v7, v2 op_sel:[1,0,0] neg_lo:[1,0,0] neg_hi:[1,0,0]
	v_pk_fma_f16 v2, v12, v7, v2 op_sel:[1,0,0] neg_lo:[0,0,1] neg_hi:[0,0,1]
	v_pk_add_f16 v7, v10, v13 op_sel:[0,1] op_sel_hi:[1,0]
	v_pk_add_f16 v10, v10, v13 op_sel:[0,1] op_sel_hi:[1,0] neg_lo:[0,1] neg_hi:[0,1]
	s_delay_alu instid0(VALU_DEP_4) | instskip(NEXT) | instid1(VALU_DEP_4)
	v_pk_add_f16 v12, v14, v13 op_sel:[0,1] op_sel_hi:[1,0] neg_lo:[0,1] neg_hi:[0,1]
	v_pk_add_f16 v2, v2, v13 op_sel:[0,1] op_sel_hi:[1,0] neg_lo:[0,1] neg_hi:[0,1]
	s_delay_alu instid0(VALU_DEP_3) | instskip(NEXT) | instid1(VALU_DEP_2)
	v_bfi_b32 v7, 0xffff, v7, v10
	v_bfi_b32 v2, 0xffff, v12, v2
	ds_store_b32 v39, v7
	ds_store_b32 v16, v2 offset:3780
	ds_load_b32 v2, v38
	ds_load_b32 v7, v16 offset:3528
	s_wait_dscnt 0x0
	v_pk_add_f16 v10, v2, v7 neg_lo:[0,1] neg_hi:[0,1]
	v_pk_add_f16 v2, v2, v7
	s_delay_alu instid0(VALU_DEP_1) | instskip(SKIP_1) | instid1(VALU_DEP_2)
	v_bfi_b32 v7, 0xffff, v10, v2
	v_bfi_b32 v2, 0xffff, v2, v10
	v_pk_mul_f16 v7, v7, 0.5 op_sel_hi:[1,0]
	s_delay_alu instid0(VALU_DEP_2) | instskip(SKIP_1) | instid1(VALU_DEP_2)
	v_pk_mul_f16 v2, v2, 0.5 op_sel_hi:[1,0]
	s_wait_loadcnt 0x3
	v_pk_mul_f16 v12, v11, v7 op_sel_hi:[0,1]
	s_delay_alu instid0(VALU_DEP_2) | instskip(SKIP_2) | instid1(VALU_DEP_3)
	v_pk_fma_f16 v10, v11, v7, v2 op_sel:[1,0,0]
	v_pk_fma_f16 v13, v11, v7, v2 op_sel:[1,0,0] neg_lo:[1,0,0] neg_hi:[1,0,0]
	v_pk_fma_f16 v2, v11, v7, v2 op_sel:[1,0,0] neg_lo:[0,0,1] neg_hi:[0,0,1]
	v_pk_add_f16 v7, v10, v12 op_sel:[0,1] op_sel_hi:[1,0]
	v_pk_add_f16 v10, v10, v12 op_sel:[0,1] op_sel_hi:[1,0] neg_lo:[0,1] neg_hi:[0,1]
	s_delay_alu instid0(VALU_DEP_4) | instskip(NEXT) | instid1(VALU_DEP_4)
	v_pk_add_f16 v11, v13, v12 op_sel:[0,1] op_sel_hi:[1,0] neg_lo:[0,1] neg_hi:[0,1]
	v_pk_add_f16 v2, v2, v12 op_sel:[0,1] op_sel_hi:[1,0] neg_lo:[0,1] neg_hi:[0,1]
	s_delay_alu instid0(VALU_DEP_3) | instskip(SKIP_1) | instid1(VALU_DEP_3)
	v_bfi_b32 v7, 0xffff, v7, v10
	v_add_nc_u32_e32 v10, v37, v17
	v_bfi_b32 v2, 0xffff, v11, v2
	ds_store_b32 v38, v7
	ds_store_b32 v16, v2 offset:3528
	ds_load_b32 v2, v10
	ds_load_b32 v7, v16 offset:3276
	s_wait_dscnt 0x0
	v_pk_add_f16 v11, v2, v7 neg_lo:[0,1] neg_hi:[0,1]
	v_pk_add_f16 v2, v2, v7
	s_delay_alu instid0(VALU_DEP_1) | instskip(SKIP_1) | instid1(VALU_DEP_2)
	v_bfi_b32 v7, 0xffff, v11, v2
	v_bfi_b32 v2, 0xffff, v2, v11
	v_pk_mul_f16 v7, v7, 0.5 op_sel_hi:[1,0]
	s_delay_alu instid0(VALU_DEP_2) | instskip(SKIP_1) | instid1(VALU_DEP_2)
	v_pk_mul_f16 v2, v2, 0.5 op_sel_hi:[1,0]
	s_wait_loadcnt 0x2
	v_pk_mul_f16 v12, v8, v7 op_sel_hi:[0,1]
	s_delay_alu instid0(VALU_DEP_2) | instskip(SKIP_2) | instid1(VALU_DEP_3)
	v_pk_fma_f16 v11, v8, v7, v2 op_sel:[1,0,0]
	v_pk_fma_f16 v13, v8, v7, v2 op_sel:[1,0,0] neg_lo:[1,0,0] neg_hi:[1,0,0]
	v_pk_fma_f16 v2, v8, v7, v2 op_sel:[1,0,0] neg_lo:[0,0,1] neg_hi:[0,0,1]
	v_pk_add_f16 v7, v11, v12 op_sel:[0,1] op_sel_hi:[1,0]
	v_pk_add_f16 v8, v11, v12 op_sel:[0,1] op_sel_hi:[1,0] neg_lo:[0,1] neg_hi:[0,1]
	s_delay_alu instid0(VALU_DEP_4) | instskip(NEXT) | instid1(VALU_DEP_4)
	v_pk_add_f16 v11, v13, v12 op_sel:[0,1] op_sel_hi:[1,0] neg_lo:[0,1] neg_hi:[0,1]
	v_pk_add_f16 v2, v2, v12 op_sel:[0,1] op_sel_hi:[1,0] neg_lo:[0,1] neg_hi:[0,1]
	s_delay_alu instid0(VALU_DEP_3) | instskip(NEXT) | instid1(VALU_DEP_2)
	v_bfi_b32 v7, 0xffff, v7, v8
	v_bfi_b32 v2, 0xffff, v11, v2
	ds_store_b32 v10, v7
	ds_store_b32 v16, v2 offset:3276
	ds_load_b32 v2, v44
	ds_load_b32 v7, v16 offset:3024
	s_wait_dscnt 0x0
	v_pk_add_f16 v8, v2, v7 neg_lo:[0,1] neg_hi:[0,1]
	v_pk_add_f16 v2, v2, v7
	s_delay_alu instid0(VALU_DEP_1) | instskip(SKIP_1) | instid1(VALU_DEP_2)
	v_bfi_b32 v7, 0xffff, v8, v2
	v_bfi_b32 v2, 0xffff, v2, v8
	v_pk_mul_f16 v7, v7, 0.5 op_sel_hi:[1,0]
	s_delay_alu instid0(VALU_DEP_2) | instskip(SKIP_1) | instid1(VALU_DEP_2)
	v_pk_mul_f16 v2, v2, 0.5 op_sel_hi:[1,0]
	s_wait_loadcnt 0x1
	v_pk_mul_f16 v10, v9, v7 op_sel_hi:[0,1]
	s_delay_alu instid0(VALU_DEP_2) | instskip(SKIP_2) | instid1(VALU_DEP_3)
	v_pk_fma_f16 v8, v9, v7, v2 op_sel:[1,0,0]
	v_pk_fma_f16 v11, v9, v7, v2 op_sel:[1,0,0] neg_lo:[1,0,0] neg_hi:[1,0,0]
	v_pk_fma_f16 v2, v9, v7, v2 op_sel:[1,0,0] neg_lo:[0,0,1] neg_hi:[0,0,1]
	v_pk_add_f16 v7, v8, v10 op_sel:[0,1] op_sel_hi:[1,0]
	v_pk_add_f16 v8, v8, v10 op_sel:[0,1] op_sel_hi:[1,0] neg_lo:[0,1] neg_hi:[0,1]
	s_delay_alu instid0(VALU_DEP_4) | instskip(NEXT) | instid1(VALU_DEP_4)
	v_pk_add_f16 v9, v11, v10 op_sel:[0,1] op_sel_hi:[1,0] neg_lo:[0,1] neg_hi:[0,1]
	v_pk_add_f16 v2, v2, v10 op_sel:[0,1] op_sel_hi:[1,0] neg_lo:[0,1] neg_hi:[0,1]
	s_delay_alu instid0(VALU_DEP_3) | instskip(NEXT) | instid1(VALU_DEP_2)
	v_bfi_b32 v7, 0xffff, v7, v8
	v_bfi_b32 v2, 0xffff, v9, v2
	ds_store_b32 v44, v7
	ds_store_b32 v16, v2 offset:3024
	ds_load_b32 v2, v1
	ds_load_b32 v7, v16 offset:2772
	s_wait_dscnt 0x0
	v_pk_add_f16 v8, v2, v7 neg_lo:[0,1] neg_hi:[0,1]
	v_pk_add_f16 v2, v2, v7
	s_delay_alu instid0(VALU_DEP_1) | instskip(SKIP_1) | instid1(VALU_DEP_2)
	v_bfi_b32 v7, 0xffff, v8, v2
	v_bfi_b32 v2, 0xffff, v2, v8
	v_pk_mul_f16 v7, v7, 0.5 op_sel_hi:[1,0]
	s_delay_alu instid0(VALU_DEP_2) | instskip(SKIP_1) | instid1(VALU_DEP_1)
	v_pk_mul_f16 v2, v2, 0.5 op_sel_hi:[1,0]
	s_wait_loadcnt 0x0
	v_pk_fma_f16 v8, v6, v7, v2 op_sel:[1,0,0]
	v_pk_mul_f16 v9, v6, v7 op_sel_hi:[0,1]
	v_pk_fma_f16 v10, v6, v7, v2 op_sel:[1,0,0] neg_lo:[1,0,0] neg_hi:[1,0,0]
	v_pk_fma_f16 v2, v6, v7, v2 op_sel:[1,0,0] neg_lo:[0,0,1] neg_hi:[0,0,1]
	s_delay_alu instid0(VALU_DEP_3) | instskip(SKIP_1) | instid1(VALU_DEP_4)
	v_pk_add_f16 v6, v8, v9 op_sel:[0,1] op_sel_hi:[1,0]
	v_pk_add_f16 v7, v8, v9 op_sel:[0,1] op_sel_hi:[1,0] neg_lo:[0,1] neg_hi:[0,1]
	v_pk_add_f16 v8, v10, v9 op_sel:[0,1] op_sel_hi:[1,0] neg_lo:[0,1] neg_hi:[0,1]
	s_delay_alu instid0(VALU_DEP_4) | instskip(NEXT) | instid1(VALU_DEP_3)
	v_pk_add_f16 v2, v2, v9 op_sel:[0,1] op_sel_hi:[1,0] neg_lo:[0,1] neg_hi:[0,1]
	v_bfi_b32 v6, 0xffff, v6, v7
	s_delay_alu instid0(VALU_DEP_2)
	v_bfi_b32 v2, 0xffff, v8, v2
	ds_store_b32 v1, v6
	ds_store_b32 v16, v2 offset:2772
	global_wb scope:SCOPE_SE
	s_wait_dscnt 0x0
	s_barrier_signal -1
	s_barrier_wait -1
	global_inv scope:SCOPE_SE
	s_and_saveexec_b32 s0, vcc_lo
	s_cbranch_execz .LBB0_32
; %bb.30:
	v_dual_mov_b32 v1, v3 :: v_dual_add_nc_u32 v10, 0x200, v35
	v_add_co_u32 v2, vcc_lo, s8, v4
	s_wait_alu 0xfffd
	v_add_co_ci_u32_e32 v3, vcc_lo, s9, v5, vcc_lo
	s_delay_alu instid0(VALU_DEP_3)
	v_lshlrev_b64_e32 v[4:5], 2, v[0:1]
	v_add_nc_u32_e32 v1, 0x400, v35
	v_add_nc_u32_e32 v14, 0x600, v35
	;; [unrolled: 1-line block ×5, first 2 shown]
	ds_load_2addr_b32 v[6:7], v35 offset1:63
	ds_load_2addr_b32 v[8:9], v35 offset0:126 offset1:189
	ds_load_2addr_b32 v[10:11], v10 offset0:124 offset1:187
	ds_load_2addr_b32 v[12:13], v1 offset0:122 offset1:185
	ds_load_2addr_b32 v[14:15], v14 offset0:120 offset1:183
	ds_load_2addr_b32 v[16:17], v16 offset0:118 offset1:181
	ds_load_2addr_b32 v[18:19], v18 offset0:116 offset1:179
	ds_load_2addr_b32 v[20:21], v20 offset0:114 offset1:177
	v_add_nc_u32_e32 v1, 0xe00, v35
	v_add_nc_u32_e32 v24, 0x1000, v35
	ds_load_2addr_b32 v[22:23], v1 offset0:112 offset1:175
	ds_load_2addr_b32 v[24:25], v24 offset0:110 offset1:173
	v_add_co_u32 v4, vcc_lo, v2, v4
	s_wait_alu 0xfffd
	v_add_co_ci_u32_e32 v5, vcc_lo, v3, v5, vcc_lo
	v_cmp_eq_u32_e32 vcc_lo, 62, v0
	s_wait_dscnt 0x9
	s_clause 0x1
	global_store_b32 v[4:5], v6, off
	global_store_b32 v[4:5], v7, off offset:252
	s_wait_dscnt 0x8
	s_clause 0x1
	global_store_b32 v[4:5], v8, off offset:504
	global_store_b32 v[4:5], v9, off offset:756
	s_wait_dscnt 0x7
	s_clause 0x1
	global_store_b32 v[4:5], v10, off offset:1008
	;; [unrolled: 4-line block ×9, first 2 shown]
	global_store_b32 v[4:5], v25, off offset:4788
	s_and_b32 exec_lo, exec_lo, vcc_lo
	s_cbranch_execz .LBB0_32
; %bb.31:
	v_mov_b32_e32 v0, 0
	ds_load_b32 v0, v0 offset:5040
	s_wait_dscnt 0x0
	global_store_b32 v[2:3], v0, off offset:5040
.LBB0_32:
	s_nop 0
	s_sendmsg sendmsg(MSG_DEALLOC_VGPRS)
	s_endpgm
	.section	.rodata,"a",@progbits
	.p2align	6, 0x0
	.amdhsa_kernel fft_rtc_back_len1260_factors_2_2_3_3_5_7_wgs_63_tpt_63_halfLds_half_ip_CI_unitstride_sbrr_R2C_dirReg
		.amdhsa_group_segment_fixed_size 0
		.amdhsa_private_segment_fixed_size 0
		.amdhsa_kernarg_size 88
		.amdhsa_user_sgpr_count 2
		.amdhsa_user_sgpr_dispatch_ptr 0
		.amdhsa_user_sgpr_queue_ptr 0
		.amdhsa_user_sgpr_kernarg_segment_ptr 1
		.amdhsa_user_sgpr_dispatch_id 0
		.amdhsa_user_sgpr_private_segment_size 0
		.amdhsa_wavefront_size32 1
		.amdhsa_uses_dynamic_stack 0
		.amdhsa_enable_private_segment 0
		.amdhsa_system_sgpr_workgroup_id_x 1
		.amdhsa_system_sgpr_workgroup_id_y 0
		.amdhsa_system_sgpr_workgroup_id_z 0
		.amdhsa_system_sgpr_workgroup_info 0
		.amdhsa_system_vgpr_workitem_id 0
		.amdhsa_next_free_vgpr 147
		.amdhsa_next_free_sgpr 32
		.amdhsa_reserve_vcc 1
		.amdhsa_float_round_mode_32 0
		.amdhsa_float_round_mode_16_64 0
		.amdhsa_float_denorm_mode_32 3
		.amdhsa_float_denorm_mode_16_64 3
		.amdhsa_fp16_overflow 0
		.amdhsa_workgroup_processor_mode 1
		.amdhsa_memory_ordered 1
		.amdhsa_forward_progress 0
		.amdhsa_round_robin_scheduling 0
		.amdhsa_exception_fp_ieee_invalid_op 0
		.amdhsa_exception_fp_denorm_src 0
		.amdhsa_exception_fp_ieee_div_zero 0
		.amdhsa_exception_fp_ieee_overflow 0
		.amdhsa_exception_fp_ieee_underflow 0
		.amdhsa_exception_fp_ieee_inexact 0
		.amdhsa_exception_int_div_zero 0
	.end_amdhsa_kernel
	.text
.Lfunc_end0:
	.size	fft_rtc_back_len1260_factors_2_2_3_3_5_7_wgs_63_tpt_63_halfLds_half_ip_CI_unitstride_sbrr_R2C_dirReg, .Lfunc_end0-fft_rtc_back_len1260_factors_2_2_3_3_5_7_wgs_63_tpt_63_halfLds_half_ip_CI_unitstride_sbrr_R2C_dirReg
                                        ; -- End function
	.section	.AMDGPU.csdata,"",@progbits
; Kernel info:
; codeLenInByte = 16492
; NumSgprs: 34
; NumVgprs: 147
; ScratchSize: 0
; MemoryBound: 0
; FloatMode: 240
; IeeeMode: 1
; LDSByteSize: 0 bytes/workgroup (compile time only)
; SGPRBlocks: 4
; VGPRBlocks: 18
; NumSGPRsForWavesPerEU: 34
; NumVGPRsForWavesPerEU: 147
; Occupancy: 9
; WaveLimiterHint : 1
; COMPUTE_PGM_RSRC2:SCRATCH_EN: 0
; COMPUTE_PGM_RSRC2:USER_SGPR: 2
; COMPUTE_PGM_RSRC2:TRAP_HANDLER: 0
; COMPUTE_PGM_RSRC2:TGID_X_EN: 1
; COMPUTE_PGM_RSRC2:TGID_Y_EN: 0
; COMPUTE_PGM_RSRC2:TGID_Z_EN: 0
; COMPUTE_PGM_RSRC2:TIDIG_COMP_CNT: 0
	.text
	.p2alignl 7, 3214868480
	.fill 96, 4, 3214868480
	.type	__hip_cuid_f6a9847731a7a0b7,@object ; @__hip_cuid_f6a9847731a7a0b7
	.section	.bss,"aw",@nobits
	.globl	__hip_cuid_f6a9847731a7a0b7
__hip_cuid_f6a9847731a7a0b7:
	.byte	0                               ; 0x0
	.size	__hip_cuid_f6a9847731a7a0b7, 1

	.ident	"AMD clang version 19.0.0git (https://github.com/RadeonOpenCompute/llvm-project roc-6.4.0 25133 c7fe45cf4b819c5991fe208aaa96edf142730f1d)"
	.section	".note.GNU-stack","",@progbits
	.addrsig
	.addrsig_sym __hip_cuid_f6a9847731a7a0b7
	.amdgpu_metadata
---
amdhsa.kernels:
  - .args:
      - .actual_access:  read_only
        .address_space:  global
        .offset:         0
        .size:           8
        .value_kind:     global_buffer
      - .offset:         8
        .size:           8
        .value_kind:     by_value
      - .actual_access:  read_only
        .address_space:  global
        .offset:         16
        .size:           8
        .value_kind:     global_buffer
      - .actual_access:  read_only
        .address_space:  global
        .offset:         24
        .size:           8
        .value_kind:     global_buffer
      - .offset:         32
        .size:           8
        .value_kind:     by_value
      - .actual_access:  read_only
        .address_space:  global
        .offset:         40
        .size:           8
        .value_kind:     global_buffer
      - .actual_access:  read_only
        .address_space:  global
        .offset:         48
        .size:           8
        .value_kind:     global_buffer
      - .offset:         56
        .size:           4
        .value_kind:     by_value
      - .actual_access:  read_only
        .address_space:  global
        .offset:         64
        .size:           8
        .value_kind:     global_buffer
      - .actual_access:  read_only
        .address_space:  global
        .offset:         72
        .size:           8
        .value_kind:     global_buffer
      - .address_space:  global
        .offset:         80
        .size:           8
        .value_kind:     global_buffer
    .group_segment_fixed_size: 0
    .kernarg_segment_align: 8
    .kernarg_segment_size: 88
    .language:       OpenCL C
    .language_version:
      - 2
      - 0
    .max_flat_workgroup_size: 63
    .name:           fft_rtc_back_len1260_factors_2_2_3_3_5_7_wgs_63_tpt_63_halfLds_half_ip_CI_unitstride_sbrr_R2C_dirReg
    .private_segment_fixed_size: 0
    .sgpr_count:     34
    .sgpr_spill_count: 0
    .symbol:         fft_rtc_back_len1260_factors_2_2_3_3_5_7_wgs_63_tpt_63_halfLds_half_ip_CI_unitstride_sbrr_R2C_dirReg.kd
    .uniform_work_group_size: 1
    .uses_dynamic_stack: false
    .vgpr_count:     147
    .vgpr_spill_count: 0
    .wavefront_size: 32
    .workgroup_processor_mode: 1
amdhsa.target:   amdgcn-amd-amdhsa--gfx1201
amdhsa.version:
  - 1
  - 2
...

	.end_amdgpu_metadata
